;; amdgpu-corpus repo=ROCm/rocFFT kind=compiled arch=gfx1201 opt=O3
	.text
	.amdgcn_target "amdgcn-amd-amdhsa--gfx1201"
	.amdhsa_code_object_version 6
	.protected	bluestein_single_fwd_len3750_dim1_dp_op_CI_CI ; -- Begin function bluestein_single_fwd_len3750_dim1_dp_op_CI_CI
	.globl	bluestein_single_fwd_len3750_dim1_dp_op_CI_CI
	.p2align	8
	.type	bluestein_single_fwd_len3750_dim1_dp_op_CI_CI,@function
bluestein_single_fwd_len3750_dim1_dp_op_CI_CI: ; @bluestein_single_fwd_len3750_dim1_dp_op_CI_CI
; %bb.0:
	s_load_b128 s[16:19], s[0:1], 0x28
	v_mul_u32_u24_e32 v1, 0x20d, v0
	s_mov_b32 s2, exec_lo
	v_mov_b32_e32 v3, 0
	s_delay_alu instid0(VALU_DEP_2) | instskip(NEXT) | instid1(VALU_DEP_1)
	v_lshrrev_b32_e32 v1, 16, v1
	v_add_nc_u32_e32 v2, ttmp9, v1
	s_wait_kmcnt 0x0
	s_delay_alu instid0(VALU_DEP_1)
	v_cmpx_gt_u64_e64 s[16:17], v[2:3]
	s_cbranch_execz .LBB0_2
; %bb.1:
	s_clause 0x1
	s_load_b128 s[4:7], s[0:1], 0x18
	s_load_b128 s[8:11], s[0:1], 0x0
	v_mul_lo_u16 v1, 0x7d, v1
	v_mov_b32_e32 v4, v2
	s_mov_b32 s2, 0xffff6b90
	s_mov_b32 s3, -1
	s_mov_b32 s22, 0xe8584caa
	v_sub_nc_u16 v41, v0, v1
	scratch_store_b64 off, v[4:5], off      ; 8-byte Folded Spill
	s_mov_b32 s23, 0x3febb67a
	s_mov_b32 s25, 0xbfebb67a
	;; [unrolled: 1-line block ×3, first 2 shown]
	v_and_b32_e32 v170, 0xffff, v41
	s_mov_b32 s16, 0x134454ff
	s_mov_b32 s17, 0x3fee6f0e
	;; [unrolled: 1-line block ×7, first 2 shown]
	s_wait_kmcnt 0x0
	s_load_b128 s[12:15], s[4:5], 0x0
	s_load_b64 s[0:1], s[0:1], 0x38
	s_wait_kmcnt 0x0
	v_mad_co_u64_u32 v[0:1], null, s14, v2, 0
	v_mad_co_u64_u32 v[2:3], null, s12, v170, 0
	s_mul_u64 s[4:5], s[12:13], 0x4e20
	s_delay_alu instid0(VALU_DEP_1) | instskip(SKIP_1) | instid1(VALU_DEP_1)
	v_mad_co_u64_u32 v[4:5], null, s15, v4, v[1:2]
	s_mov_b32 s15, 0xbfe2cf23
	v_mov_b32_e32 v1, v4
	s_delay_alu instid0(VALU_DEP_3) | instskip(SKIP_2) | instid1(VALU_DEP_3)
	v_mad_co_u64_u32 v[5:6], null, s13, v170, v[3:4]
	v_lshlrev_b32_e32 v40, 4, v170
	s_mul_u64 s[12:13], s[12:13], s[2:3]
	v_lshlrev_b64_e32 v[0:1], 4, v[0:1]
	v_add_co_u32 v176, null, 0x271, v170
	global_load_b128 v[48:51], v40, s[8:9]
	v_mov_b32_e32 v3, v5
	v_mov_b32_e32 v171, v170
	v_add_co_u32 v0, vcc_lo, s18, v0
	v_add_co_ci_u32_e32 v1, vcc_lo, s19, v1, vcc_lo
	s_delay_alu instid0(VALU_DEP_4) | instskip(SKIP_2) | instid1(VALU_DEP_1)
	v_lshlrev_b64_e32 v[2:3], 4, v[2:3]
	s_mov_b32 s19, 0xbfee6f0e
	s_mov_b32 s18, s16
	v_add_co_u32 v0, vcc_lo, v0, v2
	s_wait_alu 0xfffd
	s_delay_alu instid0(VALU_DEP_2) | instskip(NEXT) | instid1(VALU_DEP_2)
	v_add_co_ci_u32_e32 v1, vcc_lo, v1, v3, vcc_lo
	v_add_co_u32 v4, vcc_lo, v0, s4
	s_wait_alu 0xfffd
	s_delay_alu instid0(VALU_DEP_2)
	v_add_co_ci_u32_e32 v5, vcc_lo, s5, v1, vcc_lo
	global_load_b128 v[0:3], v[0:1], off
	v_add_co_u32 v12, vcc_lo, v4, s4
	s_wait_alu 0xfffd
	v_add_co_ci_u32_e32 v13, vcc_lo, s5, v5, vcc_lo
	global_load_b128 v[52:55], v40, s[8:9] offset:20000
	global_load_b128 v[4:7], v[4:5], off
	global_load_b128 v[60:63], v40, s[8:9] offset:40000
	global_load_b128 v[8:11], v[12:13], off
	s_wait_alu 0xfffe
	v_add_co_u32 v12, vcc_lo, v12, s12
	s_wait_alu 0xfffd
	v_add_co_ci_u32_e32 v13, vcc_lo, s13, v13, vcc_lo
	global_load_b128 v[64:67], v40, s[8:9] offset:2000
	global_load_b128 v[20:23], v[12:13], off
	v_add_co_u32 v12, vcc_lo, v12, s4
	s_wait_alu 0xfffd
	v_add_co_ci_u32_e32 v13, vcc_lo, s5, v13, vcc_lo
	global_load_b128 v[80:83], v40, s[8:9] offset:22000
	global_load_b128 v[16:19], v[12:13], off
	v_add_co_u32 v24, vcc_lo, v12, s4
	s_wait_alu 0xfffd
	v_add_co_ci_u32_e32 v25, vcc_lo, s5, v13, vcc_lo
	global_load_b128 v[72:75], v40, s[8:9] offset:42000
	global_load_b128 v[12:15], v[24:25], off
	v_add_co_u32 v28, vcc_lo, v24, s12
	s_wait_alu 0xfffd
	v_add_co_ci_u32_e32 v29, vcc_lo, s13, v25, vcc_lo
	global_load_b128 v[68:71], v40, s[8:9] offset:4000
	global_load_b128 v[24:27], v[28:29], off
	v_add_co_u32 v32, vcc_lo, v28, s4
	s_wait_alu 0xfffd
	v_add_co_ci_u32_e32 v33, vcc_lo, s5, v29, vcc_lo
	global_load_b128 v[76:79], v40, s[8:9] offset:24000
	global_load_b128 v[28:31], v[32:33], off
	v_add_co_u32 v36, vcc_lo, v32, s4
	s_wait_alu 0xfffd
	v_add_co_ci_u32_e32 v37, vcc_lo, s5, v33, vcc_lo
	global_load_b128 v[84:87], v40, s[8:9] offset:44000
	global_load_b128 v[32:35], v[36:37], off
	v_add_co_u32 v42, vcc_lo, v36, s12
	s_wait_alu 0xfffd
	v_add_co_ci_u32_e32 v43, vcc_lo, s13, v37, vcc_lo
	global_load_b128 v[88:91], v40, s[8:9] offset:6000
	global_load_b128 v[36:39], v[42:43], off
	v_add_co_u32 v46, vcc_lo, v42, s4
	s_wait_alu 0xfffd
	v_add_co_ci_u32_e32 v47, vcc_lo, s5, v43, vcc_lo
	s_wait_loadcnt 0x13
	v_dual_mov_b32 v42, v48 :: v_dual_mov_b32 v45, v51
	v_dual_mov_b32 v43, v49 :: v_dual_mov_b32 v44, v50
	global_load_b128 v[92:95], v40, s[8:9] offset:26000
	v_mov_b32_e32 v99, v45
	v_dual_mov_b32 v97, v43 :: v_dual_mov_b32 v96, v42
	v_mov_b32_e32 v98, v44
	s_wait_loadcnt 0x13
	v_mul_f64_e32 v[48:49], v[2:3], v[44:45]
	v_mul_f64_e32 v[50:51], v[0:1], v[44:45]
	s_wait_loadcnt 0x12
	v_dual_mov_b32 v42, v52 :: v_dual_mov_b32 v45, v55
	v_dual_mov_b32 v43, v53 :: v_dual_mov_b32 v44, v54
	s_wait_loadcnt 0x10
	v_dual_mov_b32 v103, v63 :: v_dual_mov_b32 v102, v62
	v_mov_b32_e32 v101, v61
	s_delay_alu instid0(VALU_DEP_3)
	v_dual_mov_b32 v107, v45 :: v_dual_mov_b32 v106, v44
	v_mul_f64_e32 v[52:53], v[6:7], v[44:45]
	v_mul_f64_e32 v[54:55], v[4:5], v[44:45]
	v_dual_mov_b32 v105, v43 :: v_dual_mov_b32 v104, v42
	global_load_b128 v[42:45], v[46:47], off
	v_mov_b32_e32 v100, v60
	v_add_co_u32 v60, vcc_lo, v46, s4
	s_wait_alu 0xfffd
	v_add_co_ci_u32_e32 v61, vcc_lo, s5, v47, vcc_lo
	s_clause 0x1
	scratch_store_b128 off, v[96:99], off offset:440
	scratch_store_b128 off, v[104:107], off offset:456
	s_wait_loadcnt 0x10
	v_mul_f64_e32 v[56:57], v[10:11], v[62:63]
	v_mul_f64_e32 v[58:59], v[8:9], v[62:63]
	s_wait_loadcnt 0xf
	scratch_store_b128 off, v[64:67], off offset:392 ; 16-byte Folded Spill
	s_wait_loadcnt 0xb
	s_clause 0x2
	scratch_store_b128 off, v[72:75], off offset:408
	scratch_store_b128 off, v[100:103], off offset:472
	;; [unrolled: 1-line block ×3, first 2 shown]
	s_wait_loadcnt 0x9
	scratch_store_b128 off, v[68:71], off offset:312 ; 16-byte Folded Spill
	v_fma_f64 v[0:1], v[0:1], v[96:97], v[48:49]
	s_wait_loadcnt 0x7
	scratch_store_b128 off, v[76:79], off offset:344 ; 16-byte Folded Spill
	v_fma_f64 v[2:3], v[2:3], v[96:97], -v[50:51]
	global_load_b128 v[96:99], v40, s[8:9] offset:46000
	global_load_b128 v[46:49], v[60:61], off
	v_mul_f64_e32 v[50:51], v[22:23], v[66:67]
	s_wait_loadcnt 0x7
	scratch_store_b128 off, v[84:87], off offset:200 ; 16-byte Folded Spill
	v_fma_f64 v[4:5], v[4:5], v[104:105], v[52:53]
	v_mul_f64_e32 v[52:53], v[20:21], v[66:67]
	v_fma_f64 v[6:7], v[6:7], v[104:105], -v[54:55]
	v_add_co_u32 v54, vcc_lo, v60, s12
	s_wait_alu 0xfffd
	v_add_co_ci_u32_e32 v55, vcc_lo, s13, v61, vcc_lo
	global_load_b128 v[60:63], v40, s[8:9] offset:8000
	s_wait_loadcnt 0x6
	scratch_store_b128 off, v[88:91], off offset:360 ; 16-byte Folded Spill
	v_fma_f64 v[8:9], v[8:9], v[100:101], v[56:57]
	v_fma_f64 v[10:11], v[10:11], v[100:101], -v[58:59]
	v_fma_f64 v[20:21], v[20:21], v[64:65], v[50:51]
	v_mul_f64_e32 v[50:51], v[18:19], v[82:83]
	v_fma_f64 v[22:23], v[22:23], v[64:65], -v[52:53]
	v_mul_f64_e32 v[52:53], v[16:17], v[82:83]
	global_load_b128 v[64:67], v40, s[8:9] offset:28000
	v_fma_f64 v[16:17], v[16:17], v[80:81], v[50:51]
	v_mul_f64_e32 v[50:51], v[14:15], v[74:75]
	v_fma_f64 v[18:19], v[18:19], v[80:81], -v[52:53]
	v_mul_f64_e32 v[52:53], v[12:13], v[74:75]
	s_delay_alu instid0(VALU_DEP_3) | instskip(SKIP_1) | instid1(VALU_DEP_3)
	v_fma_f64 v[12:13], v[12:13], v[72:73], v[50:51]
	v_mul_f64_e32 v[50:51], v[26:27], v[70:71]
	v_fma_f64 v[14:15], v[14:15], v[72:73], -v[52:53]
	v_mul_f64_e32 v[52:53], v[24:25], v[70:71]
	s_delay_alu instid0(VALU_DEP_3) | instskip(SKIP_1) | instid1(VALU_DEP_3)
	v_fma_f64 v[24:25], v[24:25], v[68:69], v[50:51]
	v_mul_f64_e32 v[50:51], v[30:31], v[78:79]
	v_fma_f64 v[26:27], v[26:27], v[68:69], -v[52:53]
	v_mul_f64_e32 v[52:53], v[28:29], v[78:79]
	global_load_b128 v[68:71], v40, s[8:9] offset:48000
	v_fma_f64 v[28:29], v[28:29], v[76:77], v[50:51]
	v_mul_f64_e32 v[50:51], v[34:35], v[86:87]
	v_fma_f64 v[30:31], v[30:31], v[76:77], -v[52:53]
	v_mul_f64_e32 v[52:53], v[32:33], v[86:87]
	s_delay_alu instid0(VALU_DEP_3) | instskip(SKIP_2) | instid1(VALU_DEP_3)
	v_fma_f64 v[32:33], v[32:33], v[84:85], v[50:51]
	s_wait_loadcnt 0x7
	v_mul_f64_e32 v[50:51], v[38:39], v[90:91]
	v_fma_f64 v[34:35], v[34:35], v[84:85], -v[52:53]
	v_mul_f64_e32 v[52:53], v[36:37], v[90:91]
	s_wait_loadcnt 0x6
	scratch_store_b128 off, v[92:95], off offset:248 ; 16-byte Folded Spill
	v_fma_f64 v[36:37], v[36:37], v[88:89], v[50:51]
	v_fma_f64 v[38:39], v[38:39], v[88:89], -v[52:53]
	s_wait_loadcnt 0x5
	v_mul_f64_e32 v[50:51], v[44:45], v[94:95]
	v_mul_f64_e32 v[52:53], v[42:43], v[94:95]
	s_wait_loadcnt 0x4
	scratch_store_b128 off, v[96:99], off offset:184 ; 16-byte Folded Spill
	v_fma_f64 v[42:43], v[42:43], v[92:93], v[50:51]
	v_fma_f64 v[44:45], v[44:45], v[92:93], -v[52:53]
	s_wait_loadcnt 0x3
	v_mul_f64_e32 v[50:51], v[48:49], v[98:99]
	v_mul_f64_e32 v[52:53], v[46:47], v[98:99]
	s_wait_loadcnt 0x2
	scratch_store_b128 off, v[60:63], off offset:216 ; 16-byte Folded Spill
	s_wait_loadcnt 0x1
	scratch_store_b128 off, v[64:67], off offset:232 ; 16-byte Folded Spill
	v_fma_f64 v[46:47], v[46:47], v[96:97], v[50:51]
	v_fma_f64 v[48:49], v[48:49], v[96:97], -v[52:53]
	global_load_b128 v[50:53], v[54:55], off
	s_wait_loadcnt 0x1
	scratch_store_b128 off, v[68:71], off offset:296 ; 16-byte Folded Spill
	s_wait_loadcnt 0x0
	v_mul_f64_e32 v[58:59], v[50:51], v[62:63]
	v_mul_f64_e32 v[56:57], v[52:53], v[62:63]
	s_delay_alu instid0(VALU_DEP_2) | instskip(SKIP_3) | instid1(VALU_DEP_4)
	v_fma_f64 v[52:53], v[52:53], v[60:61], -v[58:59]
	v_add_co_u32 v58, vcc_lo, v54, s4
	s_wait_alu 0xfffd
	v_add_co_ci_u32_e32 v59, vcc_lo, s5, v55, vcc_lo
	v_fma_f64 v[50:51], v[50:51], v[60:61], v[56:57]
	global_load_b128 v[54:57], v[58:59], off
	s_wait_loadcnt 0x0
	v_mul_f64_e32 v[62:63], v[54:55], v[66:67]
	v_mul_f64_e32 v[60:61], v[56:57], v[66:67]
	s_delay_alu instid0(VALU_DEP_2) | instskip(SKIP_3) | instid1(VALU_DEP_4)
	v_fma_f64 v[56:57], v[56:57], v[64:65], -v[62:63]
	v_add_co_u32 v62, vcc_lo, v58, s4
	s_wait_alu 0xfffd
	v_add_co_ci_u32_e32 v63, vcc_lo, s5, v59, vcc_lo
	v_fma_f64 v[54:55], v[54:55], v[64:65], v[60:61]
	global_load_b128 v[58:61], v[62:63], off
	s_wait_loadcnt 0x0
	v_mul_f64_e32 v[66:67], v[58:59], v[70:71]
	v_mul_f64_e32 v[64:65], v[60:61], v[70:71]
	s_delay_alu instid0(VALU_DEP_2) | instskip(SKIP_3) | instid1(VALU_DEP_4)
	v_fma_f64 v[60:61], v[60:61], v[68:69], -v[66:67]
	v_add_co_u32 v66, vcc_lo, v62, s12
	s_wait_alu 0xfffd
	v_add_co_ci_u32_e32 v67, vcc_lo, s13, v63, vcc_lo
	v_fma_f64 v[58:59], v[58:59], v[68:69], v[64:65]
	global_load_b128 v[72:75], v40, s[8:9] offset:10000
	global_load_b128 v[62:65], v[66:67], off
	s_clause 0x2
	global_load_b128 v[76:79], v40, s[8:9] offset:30000
	global_load_b128 v[84:87], v40, s[8:9] offset:12000
	;; [unrolled: 1-line block ×3, first 2 shown]
	s_wait_loadcnt 0x4
	scratch_store_b128 off, v[72:75], off offset:424 ; 16-byte Folded Spill
	s_wait_loadcnt 0x3
	v_mul_f64_e32 v[70:71], v[62:63], v[74:75]
	v_mul_f64_e32 v[68:69], v[64:65], v[74:75]
	s_wait_loadcnt 0x1
	s_clause 0x1
	scratch_store_b128 off, v[84:87], off offset:328
	scratch_store_b128 off, v[76:79], off offset:264
	s_wait_loadcnt 0x0
	scratch_store_b128 off, v[80:83], off offset:280 ; 16-byte Folded Spill
	v_fma_f64 v[64:65], v[64:65], v[72:73], -v[70:71]
	v_add_co_u32 v70, vcc_lo, v66, s4
	s_wait_alu 0xfffd
	v_add_co_ci_u32_e32 v71, vcc_lo, s5, v67, vcc_lo
	v_fma_f64 v[62:63], v[62:63], v[72:73], v[68:69]
	global_load_b128 v[66:69], v[70:71], off
	s_wait_loadcnt 0x0
	v_mul_f64_e32 v[74:75], v[66:67], v[78:79]
	v_mul_f64_e32 v[72:73], v[68:69], v[78:79]
	s_delay_alu instid0(VALU_DEP_2) | instskip(SKIP_3) | instid1(VALU_DEP_4)
	v_fma_f64 v[68:69], v[68:69], v[76:77], -v[74:75]
	v_add_co_u32 v74, vcc_lo, v70, s4
	s_wait_alu 0xfffd
	v_add_co_ci_u32_e32 v75, vcc_lo, s5, v71, vcc_lo
	v_fma_f64 v[66:67], v[66:67], v[76:77], v[72:73]
	global_load_b128 v[70:73], v[74:75], off
	s_wait_loadcnt 0x0
	v_mul_f64_e32 v[78:79], v[70:71], v[82:83]
	v_mul_f64_e32 v[76:77], v[72:73], v[82:83]
	s_delay_alu instid0(VALU_DEP_2) | instskip(SKIP_3) | instid1(VALU_DEP_4)
	;; [unrolled: 10-line block ×3, first 2 shown]
	v_fma_f64 v[76:77], v[76:77], v[84:85], -v[82:83]
	v_add_co_u32 v82, vcc_lo, v78, s4
	s_wait_alu 0xfffd
	v_add_co_ci_u32_e32 v83, vcc_lo, s5, v79, vcc_lo
	v_fma_f64 v[74:75], v[74:75], v[84:85], v[80:81]
	global_load_b128 v[88:91], v40, s[8:9] offset:32000
	global_load_b128 v[78:81], v[82:83], off
	s_clause 0x8
	global_load_b128 v[92:95], v40, s[8:9] offset:52000
	global_load_b128 v[104:107], v40, s[8:9] offset:54000
	global_load_b128 v[96:99], v40, s[8:9] offset:14000
	global_load_b128 v[108:111], v40, s[8:9] offset:16000
	global_load_b128 v[100:103], v40, s[8:9] offset:34000
	global_load_b128 v[120:123], v40, s[8:9] offset:18000
	global_load_b128 v[112:115], v40, s[8:9] offset:36000
	global_load_b128 v[124:127], v40, s[8:9] offset:38000
	global_load_b128 v[116:119], v40, s[8:9] offset:56000
	s_wait_loadcnt 0xa
	scratch_store_b128 off, v[88:91], off offset:168 ; 16-byte Folded Spill
	s_wait_loadcnt 0x9
	v_mul_f64_e32 v[86:87], v[78:79], v[90:91]
	s_wait_loadcnt 0x8
	scratch_store_b128 off, v[92:95], off offset:152 ; 16-byte Folded Spill
	v_mul_f64_e32 v[84:85], v[80:81], v[90:91]
	s_wait_loadcnt 0x6
	s_clause 0x1
	scratch_store_b128 off, v[96:99], off offset:120
	scratch_store_b128 off, v[104:107], off offset:104
	s_wait_loadcnt 0x4
	s_clause 0x1
	scratch_store_b128 off, v[100:103], off offset:88
	scratch_store_b128 off, v[108:111], off offset:8
	;; [unrolled: 4-line block ×4, first 2 shown]
	v_fma_f64 v[80:81], v[80:81], v[88:89], -v[86:87]
	v_add_co_u32 v86, vcc_lo, v82, s4
	s_wait_alu 0xfffd
	v_add_co_ci_u32_e32 v87, vcc_lo, s5, v83, vcc_lo
	v_fma_f64 v[78:79], v[78:79], v[88:89], v[84:85]
	global_load_b128 v[82:85], v[86:87], off
	s_wait_loadcnt 0x0
	v_mul_f64_e32 v[90:91], v[82:83], v[94:95]
	v_mul_f64_e32 v[88:89], v[84:85], v[94:95]
	s_delay_alu instid0(VALU_DEP_2) | instskip(SKIP_3) | instid1(VALU_DEP_4)
	v_fma_f64 v[84:85], v[84:85], v[92:93], -v[90:91]
	v_add_co_u32 v90, vcc_lo, v86, s12
	s_wait_alu 0xfffd
	v_add_co_ci_u32_e32 v91, vcc_lo, s13, v87, vcc_lo
	v_fma_f64 v[82:83], v[82:83], v[92:93], v[88:89]
	global_load_b128 v[86:89], v[90:91], off
	s_wait_loadcnt 0x0
	v_mul_f64_e32 v[94:95], v[86:87], v[98:99]
	v_mul_f64_e32 v[92:93], v[88:89], v[98:99]
	s_delay_alu instid0(VALU_DEP_2) | instskip(SKIP_3) | instid1(VALU_DEP_4)
	;; [unrolled: 10-line block ×7, first 2 shown]
	v_fma_f64 v[108:109], v[108:109], v[116:117], -v[114:115]
	v_add_co_u32 v114, vcc_lo, v110, s12
	s_wait_alu 0xfffd
	v_add_co_ci_u32_e32 v115, vcc_lo, s13, v111, vcc_lo
	v_fma_f64 v[106:107], v[106:107], v[116:117], v[112:113]
	s_mov_b32 s12, 0x4755a5e
	s_mov_b32 s13, 0x3fe2cf23
	global_load_b128 v[110:113], v[114:115], off
	s_wait_alu 0xfffe
	s_mov_b32 s14, s12
	s_wait_loadcnt 0x0
	v_mul_f64_e32 v[118:119], v[110:111], v[122:123]
	v_mul_f64_e32 v[116:117], v[112:113], v[122:123]
	s_delay_alu instid0(VALU_DEP_2) | instskip(SKIP_3) | instid1(VALU_DEP_4)
	v_fma_f64 v[112:113], v[112:113], v[120:121], -v[118:119]
	v_add_co_u32 v118, vcc_lo, v114, s4
	s_wait_alu 0xfffd
	v_add_co_ci_u32_e32 v119, vcc_lo, s5, v115, vcc_lo
	v_fma_f64 v[110:111], v[110:111], v[120:121], v[116:117]
	global_load_b128 v[114:117], v[118:119], off
	v_add_co_u32 v118, vcc_lo, v118, s4
	s_wait_alu 0xfffd
	v_add_co_ci_u32_e32 v119, vcc_lo, s5, v119, vcc_lo
	v_cmp_gt_u16_e32 vcc_lo, 0x4b, v41
	s_wait_loadcnt 0x0
	v_mul_f64_e32 v[120:121], v[116:117], v[126:127]
	v_mul_f64_e32 v[122:123], v[114:115], v[126:127]
	s_delay_alu instid0(VALU_DEP_2)
	v_fma_f64 v[114:115], v[114:115], v[124:125], v[120:121]
	global_load_b128 v[118:121], v[118:119], off
	global_load_b128 v[126:129], v40, s[8:9] offset:58000
	v_fma_f64 v[116:117], v[116:117], v[124:125], -v[122:123]
	s_wait_loadcnt 0x0
	v_mul_f64_e32 v[122:123], v[120:121], v[128:129]
	v_mul_f64_e32 v[124:125], v[118:119], v[128:129]
	scratch_store_b128 off, v[126:129], off offset:136 ; 16-byte Folded Spill
	v_fma_f64 v[118:119], v[118:119], v[126:127], v[122:123]
	v_fma_f64 v[120:121], v[120:121], v[126:127], -v[124:125]
	ds_store_b128 v40, v[0:3]
	ds_store_b128 v40, v[4:7] offset:20000
	ds_store_b128 v40, v[8:11] offset:40000
	ds_store_b128 v40, v[20:23] offset:2000
	ds_store_b128 v40, v[16:19] offset:22000
	ds_store_b128 v40, v[12:15] offset:42000
	ds_store_b128 v40, v[24:27] offset:4000
	ds_store_b128 v40, v[28:31] offset:24000
	ds_store_b128 v40, v[32:35] offset:44000
	ds_store_b128 v40, v[36:39] offset:6000
	ds_store_b128 v40, v[42:45] offset:26000
	ds_store_b128 v40, v[46:49] offset:46000
	ds_store_b128 v40, v[50:53] offset:8000
	ds_store_b128 v40, v[54:57] offset:28000
	ds_store_b128 v40, v[58:61] offset:48000
	ds_store_b128 v40, v[62:65] offset:10000
	ds_store_b128 v40, v[66:69] offset:30000
	ds_store_b128 v40, v[70:73] offset:50000
	ds_store_b128 v40, v[74:77] offset:12000
	ds_store_b128 v40, v[78:81] offset:32000
	ds_store_b128 v40, v[82:85] offset:52000
	ds_store_b128 v40, v[86:89] offset:14000
	ds_store_b128 v40, v[90:93] offset:34000
	ds_store_b128 v40, v[94:97] offset:54000
	ds_store_b128 v40, v[98:101] offset:16000
	ds_store_b128 v40, v[102:105] offset:36000
	ds_store_b128 v40, v[106:109] offset:56000
	ds_store_b128 v40, v[110:113] offset:18000
	ds_store_b128 v40, v[114:117] offset:38000
	ds_store_b128 v40, v[118:121] offset:58000
	s_load_b128 s[4:7], s[6:7], 0x0
	global_wb scope:SCOPE_SE
	s_wait_storecnt_dscnt 0x0
	s_wait_kmcnt 0x0
	s_barrier_signal -1
	s_barrier_wait -1
	global_inv scope:SCOPE_SE
	ds_load_b128 v[88:91], v40
	ds_load_b128 v[0:3], v40 offset:20000
	ds_load_b128 v[4:7], v40 offset:40000
	s_mul_u64 s[2:3], s[4:5], s[2:3]
	s_wait_dscnt 0x1
	v_add_f64_e32 v[8:9], v[88:89], v[0:1]
	v_add_f64_e32 v[10:11], v[90:91], v[2:3]
	s_wait_dscnt 0x0
	v_add_f64_e32 v[42:43], v[0:1], v[4:5]
	v_add_f64_e64 v[48:49], v[2:3], -v[6:7]
	v_add_f64_e32 v[128:129], v[2:3], v[6:7]
	v_add_f64_e64 v[50:51], v[0:1], -v[4:5]
	ds_load_b128 v[0:3], v40 offset:22000
	ds_load_b128 v[92:95], v40 offset:2000
	v_add_f64_e32 v[24:25], v[8:9], v[4:5]
	v_add_f64_e32 v[26:27], v[10:11], v[6:7]
	s_wait_dscnt 0x0
	v_add_f64_e32 v[8:9], v[92:93], v[0:1]
	v_add_f64_e32 v[10:11], v[94:95], v[2:3]
	ds_load_b128 v[4:7], v40 offset:42000
	v_fma_f64 v[88:89], v[42:43], -0.5, v[88:89]
	v_fma_f64 v[90:91], v[128:129], -0.5, v[90:91]
	s_wait_dscnt 0x0
	v_add_f64_e32 v[130:131], v[0:1], v[4:5]
	v_add_f64_e64 v[52:53], v[2:3], -v[6:7]
	v_add_f64_e32 v[132:133], v[2:3], v[6:7]
	v_add_f64_e64 v[54:55], v[0:1], -v[4:5]
	v_add_f64_e32 v[0:1], v[8:9], v[4:5]
	v_add_f64_e32 v[2:3], v[10:11], v[6:7]
	ds_load_b128 v[96:99], v40 offset:4000
	ds_load_b128 v[4:7], v40 offset:24000
	;; [unrolled: 1-line block ×3, first 2 shown]
	v_fma_f64 v[42:43], v[48:49], s[22:23], v[88:89]
	s_wait_dscnt 0x1
	v_add_f64_e32 v[12:13], v[96:97], v[4:5]
	v_add_f64_e32 v[14:15], v[98:99], v[6:7]
	s_wait_dscnt 0x0
	v_add_f64_e32 v[134:135], v[4:5], v[8:9]
	v_add_f64_e64 v[56:57], v[6:7], -v[10:11]
	v_add_f64_e32 v[136:137], v[6:7], v[10:11]
	v_add_f64_e64 v[58:59], v[4:5], -v[8:9]
	v_fma_f64 v[92:93], v[130:131], -0.5, v[92:93]
	v_fma_f64 v[94:95], v[132:133], -0.5, v[94:95]
	v_add_f64_e32 v[4:5], v[12:13], v[8:9]
	v_add_f64_e32 v[6:7], v[14:15], v[10:11]
	ds_load_b128 v[100:103], v40 offset:6000
	ds_load_b128 v[8:11], v40 offset:26000
	ds_load_b128 v[12:15], v40 offset:46000
	v_fma_f64 v[96:97], v[134:135], -0.5, v[96:97]
	v_fma_f64 v[98:99], v[136:137], -0.5, v[98:99]
	s_wait_dscnt 0x1
	v_add_f64_e32 v[16:17], v[100:101], v[8:9]
	v_add_f64_e32 v[18:19], v[102:103], v[10:11]
	s_wait_dscnt 0x0
	v_add_f64_e32 v[138:139], v[8:9], v[12:13]
	v_add_f64_e64 v[60:61], v[10:11], -v[14:15]
	v_add_f64_e32 v[140:141], v[10:11], v[14:15]
	v_add_f64_e64 v[62:63], v[8:9], -v[12:13]
	v_add_f64_e32 v[8:9], v[16:17], v[12:13]
	v_add_f64_e32 v[10:11], v[18:19], v[14:15]
	ds_load_b128 v[104:107], v40 offset:8000
	ds_load_b128 v[12:15], v40 offset:28000
	ds_load_b128 v[16:19], v40 offset:48000
	v_fma_f64 v[100:101], v[138:139], -0.5, v[100:101]
	v_fma_f64 v[102:103], v[140:141], -0.5, v[102:103]
	s_wait_dscnt 0x1
	v_add_f64_e32 v[20:21], v[104:105], v[12:13]
	v_add_f64_e32 v[22:23], v[106:107], v[14:15]
	s_wait_dscnt 0x0
	v_add_f64_e32 v[142:143], v[12:13], v[16:17]
	v_add_f64_e64 v[64:65], v[14:15], -v[18:19]
	v_add_f64_e32 v[144:145], v[14:15], v[18:19]
	v_add_f64_e64 v[66:67], v[12:13], -v[16:17]
	;; [unrolled: 15-line block ×4, first 2 shown]
	v_add_f64_e32 v[20:21], v[32:33], v[28:29]
	v_add_f64_e32 v[22:23], v[34:35], v[30:31]
	ds_load_b128 v[28:31], v40 offset:34000
	ds_load_b128 v[116:119], v40 offset:14000
	;; [unrolled: 1-line block ×3, first 2 shown]
	v_fma_f64 v[112:113], v[150:151], -0.5, v[112:113]
	v_fma_f64 v[114:115], v[152:153], -0.5, v[114:115]
	v_add_co_u32 v153, null, 0x7d, v170
	v_add_co_u32 v152, null, 0x177, v170
	;; [unrolled: 1-line block ×3, first 2 shown]
	s_wait_dscnt 0x1
	v_add_f64_e32 v[36:37], v[116:117], v[28:29]
	v_add_f64_e32 v[38:39], v[118:119], v[30:31]
	s_wait_dscnt 0x0
	v_add_f64_e32 v[154:155], v[28:29], v[32:33]
	v_add_f64_e64 v[76:77], v[30:31], -v[34:35]
	v_add_f64_e32 v[156:157], v[30:31], v[34:35]
	v_add_f64_e64 v[78:79], v[28:29], -v[32:33]
	v_add_f64_e32 v[28:29], v[36:37], v[32:33]
	v_add_f64_e32 v[30:31], v[38:39], v[34:35]
	ds_load_b128 v[120:123], v40 offset:16000
	ds_load_b128 v[32:35], v40 offset:36000
	;; [unrolled: 1-line block ×3, first 2 shown]
	v_fma_f64 v[116:117], v[154:155], -0.5, v[116:117]
	v_fma_f64 v[118:119], v[156:157], -0.5, v[118:119]
	v_add_co_u32 v154, null, 0xfa, v170
	s_wait_dscnt 0x1
	v_add_f64_e32 v[44:45], v[120:121], v[32:33]
	v_add_f64_e32 v[46:47], v[122:123], v[34:35]
	s_wait_dscnt 0x0
	v_add_f64_e32 v[158:159], v[32:33], v[36:37]
	v_add_f64_e64 v[80:81], v[34:35], -v[38:39]
	v_add_f64_e32 v[160:161], v[34:35], v[38:39]
	v_add_f64_e64 v[82:83], v[32:33], -v[36:37]
	v_add_f64_e32 v[32:33], v[44:45], v[36:37]
	v_add_f64_e32 v[34:35], v[46:47], v[38:39]
	ds_load_b128 v[44:47], v40 offset:18000
	ds_load_b128 v[36:39], v40 offset:38000
	;; [unrolled: 1-line block ×3, first 2 shown]
	v_fma_f64 v[120:121], v[158:159], -0.5, v[120:121]
	v_fma_f64 v[122:123], v[160:161], -0.5, v[122:123]
	s_wait_dscnt 0x1
	v_add_f64_e32 v[162:163], v[44:45], v[36:37]
	v_add_f64_e32 v[164:165], v[46:47], v[38:39]
	s_wait_dscnt 0x0
	v_add_f64_e32 v[166:167], v[36:37], v[124:125]
	v_add_f64_e32 v[168:169], v[38:39], v[126:127]
	v_add_f64_e64 v[84:85], v[38:39], -v[126:127]
	v_add_f64_e64 v[86:87], v[36:37], -v[124:125]
	v_add_f64_e32 v[36:37], v[162:163], v[124:125]
	v_add_f64_e32 v[38:39], v[164:165], v[126:127]
	v_fma_f64 v[124:125], v[166:167], -0.5, v[44:45]
	v_fma_f64 v[126:127], v[168:169], -0.5, v[46:47]
	v_fma_f64 v[44:45], v[50:51], s[24:25], v[90:91]
	v_fma_f64 v[46:47], v[48:49], s[24:25], v[88:89]
	;; [unrolled: 1-line block ×39, first 2 shown]
	v_mul_lo_u16 v86, v41, 3
	s_delay_alu instid0(VALU_DEP_1) | instskip(NEXT) | instid1(VALU_DEP_1)
	v_and_b32_e32 v86, 0xffff, v86
	v_lshlrev_b32_e32 v86, 4, v86
	scratch_store_b32 off, v86, off offset:960 ; 4-byte Folded Spill
	global_wb scope:SCOPE_SE
	s_wait_storecnt 0x0
	s_barrier_signal -1
	s_barrier_wait -1
	global_inv scope:SCOPE_SE
	ds_store_b128 v86, v[24:27]
	ds_store_b128 v86, v[42:45] offset:16
	ds_store_b128 v86, v[46:49] offset:32
	v_mul_u32_u24_e32 v24, 3, v153
	s_delay_alu instid0(VALU_DEP_1)
	v_lshlrev_b32_e32 v24, 4, v24
	scratch_store_b32 off, v24, off offset:1048 ; 4-byte Folded Spill
	ds_store_b128 v24, v[0:3]
	ds_store_b128 v24, v[50:53] offset:16
	ds_store_b128 v24, v[88:91] offset:32
	v_mul_u32_u24_e32 v0, 3, v154
	s_delay_alu instid0(VALU_DEP_1)
	v_lshlrev_b32_e32 v0, 4, v0
	scratch_store_b32 off, v0, off offset:1040 ; 4-byte Folded Spill
	;; [unrolled: 7-line block ×5, first 2 shown]
	ds_store_b128 v0, v[16:19]
	ds_store_b128 v0, v[66:69] offset:16
	ds_store_b128 v0, v[104:107] offset:32
	v_add_nc_u32_e32 v0, 0x2ee, v170
	s_delay_alu instid0(VALU_DEP_1) | instskip(NEXT) | instid1(VALU_DEP_1)
	v_mul_u32_u24_e32 v0, 3, v0
	v_lshlrev_b32_e32 v0, 4, v0
	scratch_store_b32 off, v0, off offset:952 ; 4-byte Folded Spill
	ds_store_b128 v0, v[20:23]
	ds_store_b128 v0, v[70:73] offset:16
	ds_store_b128 v0, v[108:111] offset:32
	v_add_nc_u32_e32 v0, 0x36b, v170
	v_and_b32_e32 v111, 0xff, v153
	v_and_b32_e32 v110, 0xffff, v154
	s_delay_alu instid0(VALU_DEP_3) | instskip(NEXT) | instid1(VALU_DEP_1)
	v_mul_u32_u24_e32 v0, 3, v0
	v_lshlrev_b32_e32 v0, 4, v0
	scratch_store_b32 off, v0, off offset:884 ; 4-byte Folded Spill
	ds_store_b128 v0, v[28:31]
	ds_store_b128 v0, v[74:77] offset:16
	ds_store_b128 v0, v[112:115] offset:32
	v_add_nc_u32_e32 v0, 0x3e8, v170
	v_and_b32_e32 v112, 0xff, v41
	v_and_b32_e32 v115, 0xffff, v152
	;; [unrolled: 1-line block ×4, first 2 shown]
	v_mul_u32_u24_e32 v0, 3, v0
	s_delay_alu instid0(VALU_DEP_1)
	v_lshlrev_b32_e32 v0, 4, v0
	scratch_store_b32 off, v0, off offset:816 ; 4-byte Folded Spill
	ds_store_b128 v0, v[32:35]
	ds_store_b128 v0, v[78:81] offset:16
	ds_store_b128 v0, v[116:119] offset:32
	v_add_nc_u32_e32 v0, 0x465, v170
	s_delay_alu instid0(VALU_DEP_1) | instskip(NEXT) | instid1(VALU_DEP_1)
	v_mul_u32_u24_e32 v0, 3, v0
	v_lshlrev_b32_e32 v0, 4, v0
	scratch_store_b32 off, v0, off offset:812 ; 4-byte Folded Spill
	ds_store_b128 v0, v[36:39]
	ds_store_b128 v0, v[82:85] offset:16
	ds_store_b128 v0, v[120:123] offset:32
	v_mul_lo_u16 v0, 0xab, v112
	global_wb scope:SCOPE_SE
	s_wait_storecnt_dscnt 0x0
	s_barrier_signal -1
	s_barrier_wait -1
	global_inv scope:SCOPE_SE
	v_lshrrev_b16 v116, 9, v0
	s_delay_alu instid0(VALU_DEP_1) | instskip(NEXT) | instid1(VALU_DEP_1)
	v_mul_lo_u16 v0, v116, 3
	v_sub_nc_u16 v0, v41, v0
	s_delay_alu instid0(VALU_DEP_1)
	v_and_b32_e32 v117, 0xff, v0
	ds_load_b128 v[0:3], v40 offset:12000
	v_lshlrev_b32_e32 v6, 6, v117
	global_load_b128 v[7:10], v6, s[10:11]
	s_wait_loadcnt_dscnt 0x0
	v_mul_f64_e32 v[4:5], v[2:3], v[9:10]
	scratch_store_b128 off, v[7:10], off offset:492 ; 16-byte Folded Spill
	v_fma_f64 v[12:13], v[0:1], v[7:8], -v[4:5]
	v_mul_f64_e32 v[0:1], v[0:1], v[9:10]
	s_delay_alu instid0(VALU_DEP_1)
	v_fma_f64 v[14:15], v[2:3], v[7:8], v[0:1]
	global_load_b128 v[7:10], v6, s[10:11] offset:16
	ds_load_b128 v[0:3], v40 offset:24000
	s_wait_loadcnt_dscnt 0x0
	v_mul_f64_e32 v[4:5], v[2:3], v[9:10]
	scratch_store_b128 off, v[7:10], off offset:508 ; 16-byte Folded Spill
	v_fma_f64 v[16:17], v[0:1], v[7:8], -v[4:5]
	v_mul_f64_e32 v[0:1], v[0:1], v[9:10]
	s_delay_alu instid0(VALU_DEP_1)
	v_fma_f64 v[18:19], v[2:3], v[7:8], v[0:1]
	global_load_b128 v[7:10], v6, s[10:11] offset:32
	ds_load_b128 v[0:3], v40 offset:36000
	s_wait_loadcnt_dscnt 0x0
	v_mul_f64_e32 v[4:5], v[2:3], v[9:10]
	scratch_store_b128 off, v[7:10], off offset:524 ; 16-byte Folded Spill
	v_fma_f64 v[20:21], v[0:1], v[7:8], -v[4:5]
	v_mul_f64_e32 v[0:1], v[0:1], v[9:10]
	s_delay_alu instid0(VALU_DEP_2) | instskip(NEXT) | instid1(VALU_DEP_2)
	v_add_f64_e64 v[138:139], v[16:17], -v[20:21]
	v_fma_f64 v[22:23], v[2:3], v[7:8], v[0:1]
	global_load_b128 v[6:9], v6, s[10:11] offset:48
	ds_load_b128 v[0:3], v40 offset:48000
	v_add_f64_e64 v[134:135], v[18:19], -v[22:23]
	s_wait_loadcnt_dscnt 0x0
	v_mul_f64_e32 v[4:5], v[2:3], v[8:9]
	scratch_store_b128 off, v[6:9], off offset:540 ; 16-byte Folded Spill
	v_fma_f64 v[24:25], v[0:1], v[6:7], -v[4:5]
	v_mul_f64_e32 v[0:1], v[0:1], v[8:9]
	s_delay_alu instid0(VALU_DEP_2) | instskip(NEXT) | instid1(VALU_DEP_2)
	v_add_f64_e64 v[136:137], v[12:13], -v[24:25]
	v_fma_f64 v[26:27], v[2:3], v[6:7], v[0:1]
	v_mul_lo_u16 v0, 0xab, v111
	s_delay_alu instid0(VALU_DEP_1) | instskip(NEXT) | instid1(VALU_DEP_1)
	v_lshrrev_b16 v118, 9, v0
	v_mul_lo_u16 v0, v118, 3
	s_delay_alu instid0(VALU_DEP_1) | instskip(NEXT) | instid1(VALU_DEP_1)
	v_sub_nc_u16 v0, v153, v0
	v_and_b32_e32 v119, 0xff, v0
	ds_load_b128 v[0:3], v40 offset:14000
	v_lshlrev_b32_e32 v6, 6, v119
	global_load_b128 v[7:10], v6, s[10:11]
	v_add_f64_e64 v[132:133], v[14:15], -v[26:27]
	s_wait_loadcnt_dscnt 0x0
	v_mul_f64_e32 v[4:5], v[2:3], v[9:10]
	scratch_store_b128 off, v[7:10], off offset:556 ; 16-byte Folded Spill
	v_fma_f64 v[30:31], v[0:1], v[7:8], -v[4:5]
	v_mul_f64_e32 v[0:1], v[0:1], v[9:10]
	s_delay_alu instid0(VALU_DEP_1)
	v_fma_f64 v[28:29], v[2:3], v[7:8], v[0:1]
	global_load_b128 v[7:10], v6, s[10:11] offset:16
	ds_load_b128 v[0:3], v40 offset:26000
	s_wait_loadcnt_dscnt 0x0
	v_mul_f64_e32 v[4:5], v[2:3], v[9:10]
	scratch_store_b128 off, v[7:10], off offset:572 ; 16-byte Folded Spill
	v_fma_f64 v[34:35], v[0:1], v[7:8], -v[4:5]
	v_mul_f64_e32 v[0:1], v[0:1], v[9:10]
	s_delay_alu instid0(VALU_DEP_2) | instskip(NEXT) | instid1(VALU_DEP_2)
	v_add_f64_e64 v[144:145], v[34:35], -v[30:31]
	v_fma_f64 v[32:33], v[2:3], v[7:8], v[0:1]
	global_load_b128 v[7:10], v6, s[10:11] offset:32
	ds_load_b128 v[0:3], v40 offset:38000
	s_wait_loadcnt_dscnt 0x0
	v_mul_f64_e32 v[4:5], v[2:3], v[9:10]
	scratch_store_b128 off, v[7:10], off offset:588 ; 16-byte Folded Spill
	v_fma_f64 v[38:39], v[0:1], v[7:8], -v[4:5]
	v_mul_f64_e32 v[0:1], v[0:1], v[9:10]
	s_delay_alu instid0(VALU_DEP_2) | instskip(NEXT) | instid1(VALU_DEP_2)
	v_add_f64_e64 v[142:143], v[34:35], -v[38:39]
	;; [unrolled: 10-line block ×3, first 2 shown]
	v_fma_f64 v[106:107], v[2:3], v[6:7], v[0:1]
	v_mul_u32_u24_e32 v0, 0xaaab, v110
	s_delay_alu instid0(VALU_DEP_1) | instskip(NEXT) | instid1(VALU_DEP_1)
	v_lshrrev_b32_e32 v120, 17, v0
	v_mul_lo_u16 v0, v120, 3
	s_delay_alu instid0(VALU_DEP_1) | instskip(NEXT) | instid1(VALU_DEP_1)
	v_sub_nc_u16 v121, v154, v0
	v_lshlrev_b16 v0, 2, v121
	s_delay_alu instid0(VALU_DEP_1) | instskip(NEXT) | instid1(VALU_DEP_1)
	v_and_b32_e32 v0, 0xffff, v0
	v_lshlrev_b32_e32 v6, 4, v0
	ds_load_b128 v[0:3], v40 offset:16000
	global_load_b128 v[7:10], v6, s[10:11]
	s_wait_loadcnt_dscnt 0x0
	v_mul_f64_e32 v[4:5], v[2:3], v[9:10]
	scratch_store_b128 off, v[7:10], off offset:620 ; 16-byte Folded Spill
	v_fma_f64 v[90:91], v[0:1], v[7:8], -v[4:5]
	v_mul_f64_e32 v[0:1], v[0:1], v[9:10]
	s_delay_alu instid0(VALU_DEP_1)
	v_fma_f64 v[88:89], v[2:3], v[7:8], v[0:1]
	global_load_b128 v[7:10], v6, s[10:11] offset:16
	ds_load_b128 v[0:3], v40 offset:28000
	s_wait_loadcnt_dscnt 0x0
	v_mul_f64_e32 v[4:5], v[2:3], v[9:10]
	scratch_store_b128 off, v[7:10], off offset:636 ; 16-byte Folded Spill
	v_fma_f64 v[98:99], v[0:1], v[7:8], -v[4:5]
	v_mul_f64_e32 v[0:1], v[0:1], v[9:10]
	s_delay_alu instid0(VALU_DEP_2) | instskip(NEXT) | instid1(VALU_DEP_2)
	v_add_f64_e64 v[148:149], v[98:99], -v[90:91]
	v_fma_f64 v[92:93], v[2:3], v[7:8], v[0:1]
	global_load_b128 v[7:10], v6, s[10:11] offset:32
	ds_load_b128 v[0:3], v40 offset:40000
	s_wait_loadcnt_dscnt 0x0
	v_mul_f64_e32 v[4:5], v[2:3], v[9:10]
	scratch_store_b128 off, v[7:10], off offset:652 ; 16-byte Folded Spill
	v_fma_f64 v[96:97], v[0:1], v[7:8], -v[4:5]
	v_mul_f64_e32 v[0:1], v[0:1], v[9:10]
	s_delay_alu instid0(VALU_DEP_2) | instskip(NEXT) | instid1(VALU_DEP_2)
	v_add_f64_e64 v[146:147], v[98:99], -v[96:97]
	v_fma_f64 v[94:95], v[2:3], v[7:8], v[0:1]
	global_load_b128 v[6:9], v6, s[10:11] offset:48
	ds_load_b128 v[0:3], v40 offset:52000
	s_wait_loadcnt_dscnt 0x0
	v_mul_f64_e32 v[4:5], v[2:3], v[8:9]
	scratch_store_b128 off, v[6:9], off offset:668 ; 16-byte Folded Spill
	v_fma_f64 v[100:101], v[0:1], v[6:7], -v[4:5]
	v_mul_f64_e32 v[0:1], v[0:1], v[8:9]
	s_delay_alu instid0(VALU_DEP_1) | instskip(SKIP_1) | instid1(VALU_DEP_1)
	v_fma_f64 v[102:103], v[2:3], v[6:7], v[0:1]
	v_mul_u32_u24_e32 v0, 0xaaab, v115
	v_lshrrev_b32_e32 v122, 17, v0
	s_delay_alu instid0(VALU_DEP_1) | instskip(NEXT) | instid1(VALU_DEP_1)
	v_mul_lo_u16 v0, v122, 3
	v_sub_nc_u16 v123, v152, v0
	s_delay_alu instid0(VALU_DEP_1) | instskip(NEXT) | instid1(VALU_DEP_1)
	v_lshlrev_b16 v0, 2, v123
	v_and_b32_e32 v0, 0xffff, v0
	s_delay_alu instid0(VALU_DEP_1)
	v_lshlrev_b32_e32 v6, 4, v0
	ds_load_b128 v[0:3], v40 offset:18000
	global_load_b128 v[7:10], v6, s[10:11]
	s_wait_loadcnt_dscnt 0x0
	v_mul_f64_e32 v[4:5], v[2:3], v[9:10]
	scratch_store_b128 off, v[7:10], off offset:684 ; 16-byte Folded Spill
	v_fma_f64 v[74:75], v[0:1], v[7:8], -v[4:5]
	v_mul_f64_e32 v[0:1], v[0:1], v[9:10]
	s_delay_alu instid0(VALU_DEP_1)
	v_fma_f64 v[72:73], v[2:3], v[7:8], v[0:1]
	global_load_b128 v[7:10], v6, s[10:11] offset:16
	ds_load_b128 v[0:3], v40 offset:30000
	s_wait_loadcnt_dscnt 0x0
	v_mul_f64_e32 v[4:5], v[2:3], v[9:10]
	scratch_store_b128 off, v[7:10], off offset:700 ; 16-byte Folded Spill
	v_fma_f64 v[80:81], v[0:1], v[7:8], -v[4:5]
	v_mul_f64_e32 v[0:1], v[0:1], v[9:10]
	s_delay_alu instid0(VALU_DEP_2) | instskip(NEXT) | instid1(VALU_DEP_2)
	v_add_f64_e64 v[157:158], v[80:81], -v[74:75]
	v_fma_f64 v[76:77], v[2:3], v[7:8], v[0:1]
	global_load_b128 v[7:10], v6, s[10:11] offset:32
	ds_load_b128 v[0:3], v40 offset:42000
	s_wait_loadcnt_dscnt 0x0
	v_mul_f64_e32 v[4:5], v[2:3], v[9:10]
	scratch_store_b128 off, v[7:10], off offset:716 ; 16-byte Folded Spill
	v_fma_f64 v[82:83], v[0:1], v[7:8], -v[4:5]
	v_mul_f64_e32 v[0:1], v[0:1], v[9:10]
	s_delay_alu instid0(VALU_DEP_2) | instskip(NEXT) | instid1(VALU_DEP_2)
	v_add_f64_e64 v[155:156], v[80:81], -v[82:83]
	v_fma_f64 v[78:79], v[2:3], v[7:8], v[0:1]
	global_load_b128 v[6:9], v6, s[10:11] offset:48
	ds_load_b128 v[0:3], v40 offset:54000
	s_wait_loadcnt_dscnt 0x0
	v_mul_f64_e32 v[4:5], v[2:3], v[8:9]
	scratch_store_b128 off, v[6:9], off offset:732 ; 16-byte Folded Spill
	v_fma_f64 v[84:85], v[0:1], v[6:7], -v[4:5]
	v_mul_f64_e32 v[0:1], v[0:1], v[8:9]
	s_delay_alu instid0(VALU_DEP_1) | instskip(SKIP_1) | instid1(VALU_DEP_1)
	v_fma_f64 v[86:87], v[2:3], v[6:7], v[0:1]
	v_mul_u32_u24_e32 v0, 0xaaab, v114
	v_lshrrev_b32_e32 v124, 17, v0
	s_delay_alu instid0(VALU_DEP_1) | instskip(NEXT) | instid1(VALU_DEP_1)
	v_mul_lo_u16 v0, v124, 3
	v_sub_nc_u16 v125, v151, v0
	s_delay_alu instid0(VALU_DEP_1) | instskip(NEXT) | instid1(VALU_DEP_1)
	v_lshlrev_b16 v0, 2, v125
	v_and_b32_e32 v0, 0xffff, v0
	s_delay_alu instid0(VALU_DEP_1)
	;; [unrolled: 48-line block ×3, first 2 shown]
	v_lshlrev_b32_e32 v6, 4, v0
	ds_load_b128 v[0:3], v40 offset:22000
	global_load_b128 v[7:10], v6, s[10:11]
	s_wait_loadcnt_dscnt 0x0
	v_mul_f64_e32 v[4:5], v[2:3], v[9:10]
	scratch_store_b128 off, v[7:10], off offset:820 ; 16-byte Folded Spill
	v_fma_f64 v[42:43], v[0:1], v[7:8], -v[4:5]
	v_mul_f64_e32 v[0:1], v[0:1], v[9:10]
	s_delay_alu instid0(VALU_DEP_1)
	v_fma_f64 v[108:109], v[2:3], v[7:8], v[0:1]
	global_load_b128 v[7:10], v6, s[10:11] offset:16
	ds_load_b128 v[0:3], v40 offset:34000
	s_wait_loadcnt_dscnt 0x0
	v_mul_f64_e32 v[4:5], v[2:3], v[9:10]
	scratch_store_b128 off, v[7:10], off offset:836 ; 16-byte Folded Spill
	v_fma_f64 v[50:51], v[0:1], v[7:8], -v[4:5]
	v_mul_f64_e32 v[0:1], v[0:1], v[9:10]
	s_delay_alu instid0(VALU_DEP_2) | instskip(NEXT) | instid1(VALU_DEP_2)
	v_add_f64_e64 v[165:166], v[50:51], -v[42:43]
	v_fma_f64 v[44:45], v[2:3], v[7:8], v[0:1]
	global_load_b128 v[7:10], v6, s[10:11] offset:32
	ds_load_b128 v[0:3], v40 offset:46000
	s_wait_loadcnt_dscnt 0x0
	v_mul_f64_e32 v[4:5], v[2:3], v[9:10]
	scratch_store_b128 off, v[7:10], off offset:852 ; 16-byte Folded Spill
	v_fma_f64 v[48:49], v[0:1], v[7:8], -v[4:5]
	v_mul_f64_e32 v[0:1], v[0:1], v[9:10]
	s_delay_alu instid0(VALU_DEP_2) | instskip(NEXT) | instid1(VALU_DEP_2)
	v_add_f64_e64 v[163:164], v[50:51], -v[48:49]
	v_fma_f64 v[46:47], v[2:3], v[7:8], v[0:1]
	global_load_b128 v[6:9], v6, s[10:11] offset:48
	ds_load_b128 v[0:3], v40 offset:58000
	s_wait_loadcnt_dscnt 0x0
	v_mul_f64_e32 v[4:5], v[2:3], v[8:9]
	scratch_store_b128 off, v[6:9], off offset:868 ; 16-byte Folded Spill
	v_fma_f64 v[52:53], v[0:1], v[6:7], -v[4:5]
	v_mul_f64_e32 v[0:1], v[0:1], v[8:9]
	v_add_f64_e64 v[4:5], v[26:27], -v[22:23]
	ds_load_b128 v[8:11], v40
	v_fma_f64 v[54:55], v[2:3], v[6:7], v[0:1]
	v_add_f64_e64 v[0:1], v[12:13], -v[16:17]
	v_add_f64_e64 v[2:3], v[24:25], -v[20:21]
	s_delay_alu instid0(VALU_DEP_1) | instskip(SKIP_1) | instid1(VALU_DEP_1)
	v_add_f64_e32 v[0:1], v[0:1], v[2:3]
	v_add_f64_e64 v[2:3], v[14:15], -v[18:19]
	v_add_f64_e32 v[2:3], v[2:3], v[4:5]
	v_add_f64_e32 v[4:5], v[16:17], v[20:21]
	s_wait_dscnt 0x0
	s_delay_alu instid0(VALU_DEP_1) | instskip(SKIP_1) | instid1(VALU_DEP_1)
	v_fma_f64 v[128:129], v[4:5], -0.5, v[8:9]
	v_add_f64_e32 v[4:5], v[18:19], v[22:23]
	v_fma_f64 v[130:131], v[4:5], -0.5, v[10:11]
	s_delay_alu instid0(VALU_DEP_3) | instskip(SKIP_1) | instid1(VALU_DEP_3)
	v_fma_f64 v[4:5], v[132:133], s[16:17], v[128:129]
	v_fma_f64 v[128:129], v[132:133], s[18:19], v[128:129]
	;; [unrolled: 1-line block ×4, first 2 shown]
	s_delay_alu instid0(VALU_DEP_4) | instskip(NEXT) | instid1(VALU_DEP_4)
	v_fma_f64 v[4:5], v[134:135], s[12:13], v[4:5]
	v_fma_f64 v[128:129], v[134:135], s[14:15], v[128:129]
	s_delay_alu instid0(VALU_DEP_4) | instskip(NEXT) | instid1(VALU_DEP_4)
	v_fma_f64 v[6:7], v[138:139], s[14:15], v[6:7]
	v_fma_f64 v[130:131], v[138:139], s[12:13], v[130:131]
	;; [unrolled: 3-line block ×3, first 2 shown]
	v_add_f64_e32 v[128:129], v[12:13], v[24:25]
	v_fma_f64 v[6:7], v[2:3], s[20:21], v[6:7]
	v_fma_f64 v[2:3], v[2:3], s[20:21], v[130:131]
	v_add_f64_e32 v[130:131], v[14:15], v[26:27]
	s_delay_alu instid0(VALU_DEP_4) | instskip(SKIP_2) | instid1(VALU_DEP_4)
	v_fma_f64 v[128:129], v[128:129], -0.5, v[8:9]
	v_add_f64_e32 v[8:9], v[8:9], v[12:13]
	v_add_f64_e64 v[12:13], v[16:17], -v[12:13]
	v_fma_f64 v[130:131], v[130:131], -0.5, v[10:11]
	v_add_f64_e32 v[10:11], v[10:11], v[14:15]
	v_add_f64_e64 v[14:15], v[18:19], -v[14:15]
	v_add_f64_e32 v[8:9], v[8:9], v[16:17]
	v_add_f64_e64 v[16:17], v[20:21], -v[24:25]
	s_delay_alu instid0(VALU_DEP_4) | instskip(SKIP_1) | instid1(VALU_DEP_4)
	v_add_f64_e32 v[10:11], v[10:11], v[18:19]
	v_add_f64_e64 v[18:19], v[22:23], -v[26:27]
	v_add_f64_e32 v[8:9], v[8:9], v[20:21]
	v_fma_f64 v[20:21], v[134:135], s[18:19], v[128:129]
	v_add_f64_e32 v[12:13], v[12:13], v[16:17]
	v_add_f64_e32 v[10:11], v[10:11], v[22:23]
	v_fma_f64 v[22:23], v[134:135], s[16:17], v[128:129]
	v_add_f64_e32 v[8:9], v[8:9], v[24:25]
	v_fma_f64 v[24:25], v[138:139], s[16:17], v[130:131]
	;; [unrolled: 2-line block ×4, first 2 shown]
	v_fma_f64 v[20:21], v[132:133], s[14:15], v[22:23]
	v_fma_f64 v[18:19], v[136:137], s[14:15], v[24:25]
	v_add_f64_e64 v[24:25], v[106:107], -v[36:37]
	v_fma_f64 v[16:17], v[12:13], s[20:21], v[16:17]
	ds_load_b128 v[128:131], v40 offset:2000
	v_add_f64_e64 v[138:139], v[32:33], -v[36:37]
	v_fma_f64 v[22:23], v[136:137], s[12:13], v[26:27]
	v_fma_f64 v[12:13], v[12:13], s[20:21], v[20:21]
	;; [unrolled: 1-line block ×3, first 2 shown]
	v_add_f64_e64 v[20:21], v[30:31], -v[34:35]
	v_add_f64_e64 v[136:137], v[28:29], -v[106:107]
	v_fma_f64 v[14:15], v[14:15], s[20:21], v[22:23]
	v_add_f64_e64 v[22:23], v[104:105], -v[38:39]
	s_delay_alu instid0(VALU_DEP_1) | instskip(SKIP_1) | instid1(VALU_DEP_1)
	v_add_f64_e32 v[20:21], v[20:21], v[22:23]
	v_add_f64_e64 v[22:23], v[28:29], -v[32:33]
	v_add_f64_e32 v[22:23], v[22:23], v[24:25]
	v_add_f64_e32 v[24:25], v[34:35], v[38:39]
	s_wait_dscnt 0x0
	s_delay_alu instid0(VALU_DEP_1) | instskip(SKIP_1) | instid1(VALU_DEP_1)
	v_fma_f64 v[132:133], v[24:25], -0.5, v[128:129]
	v_add_f64_e32 v[24:25], v[32:33], v[36:37]
	v_fma_f64 v[134:135], v[24:25], -0.5, v[130:131]
	s_delay_alu instid0(VALU_DEP_3) | instskip(SKIP_1) | instid1(VALU_DEP_3)
	v_fma_f64 v[24:25], v[136:137], s[16:17], v[132:133]
	v_fma_f64 v[132:133], v[136:137], s[18:19], v[132:133]
	;; [unrolled: 1-line block ×4, first 2 shown]
	s_delay_alu instid0(VALU_DEP_4) | instskip(NEXT) | instid1(VALU_DEP_4)
	v_fma_f64 v[24:25], v[138:139], s[12:13], v[24:25]
	v_fma_f64 v[132:133], v[138:139], s[14:15], v[132:133]
	s_delay_alu instid0(VALU_DEP_4) | instskip(NEXT) | instid1(VALU_DEP_4)
	v_fma_f64 v[26:27], v[142:143], s[14:15], v[26:27]
	v_fma_f64 v[134:135], v[142:143], s[12:13], v[134:135]
	;; [unrolled: 3-line block ×3, first 2 shown]
	v_add_f64_e32 v[132:133], v[30:31], v[104:105]
	v_fma_f64 v[26:27], v[22:23], s[20:21], v[26:27]
	v_fma_f64 v[22:23], v[22:23], s[20:21], v[134:135]
	v_add_f64_e32 v[134:135], v[28:29], v[106:107]
	s_delay_alu instid0(VALU_DEP_4) | instskip(SKIP_1) | instid1(VALU_DEP_3)
	v_fma_f64 v[132:133], v[132:133], -0.5, v[128:129]
	v_add_f64_e32 v[128:129], v[128:129], v[30:31]
	v_fma_f64 v[134:135], v[134:135], -0.5, v[130:131]
	v_add_f64_e32 v[130:131], v[130:131], v[28:29]
	s_delay_alu instid0(VALU_DEP_3) | instskip(NEXT) | instid1(VALU_DEP_3)
	v_add_f64_e32 v[30:31], v[128:129], v[34:35]
	v_fma_f64 v[128:129], v[142:143], s[18:19], v[134:135]
	s_delay_alu instid0(VALU_DEP_3) | instskip(SKIP_1) | instid1(VALU_DEP_4)
	v_add_f64_e32 v[34:35], v[130:131], v[32:33]
	v_add_f64_e64 v[32:33], v[32:33], -v[28:29]
	v_add_f64_e32 v[28:29], v[30:31], v[38:39]
	s_delay_alu instid0(VALU_DEP_3) | instskip(SKIP_1) | instid1(VALU_DEP_3)
	v_add_f64_e32 v[30:31], v[34:35], v[36:37]
	v_add_f64_e64 v[34:35], v[38:39], -v[104:105]
	v_add_f64_e32 v[28:29], v[28:29], v[104:105]
	v_add_f64_e64 v[36:37], v[36:37], -v[106:107]
	v_fma_f64 v[38:39], v[138:139], s[18:19], v[132:133]
	v_fma_f64 v[104:105], v[138:139], s[16:17], v[132:133]
	v_add_f64_e32 v[30:31], v[30:31], v[106:107]
	v_fma_f64 v[106:107], v[142:143], s[16:17], v[134:135]
	v_add_f64_e32 v[34:35], v[144:145], v[34:35]
	v_add_f64_e32 v[130:131], v[32:33], v[36:37]
	v_fma_f64 v[32:33], v[136:137], s[12:13], v[38:39]
	v_fma_f64 v[104:105], v[136:137], s[14:15], v[104:105]
	v_add_f64_e64 v[142:143], v[92:93], -v[94:95]
	v_add_f64_e64 v[144:145], v[90:91], -v[100:101]
	v_fma_f64 v[38:39], v[140:141], s[14:15], v[106:107]
	v_fma_f64 v[106:107], v[140:141], s[12:13], v[128:129]
	v_add_f64_e32 v[128:129], v[98:99], v[96:97]
	v_fma_f64 v[36:37], v[34:35], s[20:21], v[32:33]
	v_fma_f64 v[32:33], v[34:35], s[20:21], v[104:105]
	v_add_f64_e64 v[104:105], v[90:91], -v[98:99]
	v_add_f64_e64 v[140:141], v[88:89], -v[102:103]
	v_fma_f64 v[38:39], v[130:131], s[20:21], v[38:39]
	v_fma_f64 v[34:35], v[130:131], s[20:21], v[106:107]
	v_add_f64_e64 v[106:107], v[100:101], -v[96:97]
	s_delay_alu instid0(VALU_DEP_1) | instskip(SKIP_2) | instid1(VALU_DEP_1)
	v_add_f64_e32 v[132:133], v[104:105], v[106:107]
	v_add_f64_e64 v[104:105], v[88:89], -v[92:93]
	v_add_f64_e64 v[106:107], v[102:103], -v[94:95]
	v_add_f64_e32 v[134:135], v[104:105], v[106:107]
	ds_load_b128 v[104:107], v40 offset:4000
	s_wait_dscnt 0x0
	v_fma_f64 v[136:137], v[128:129], -0.5, v[104:105]
	v_add_f64_e32 v[128:129], v[92:93], v[94:95]
	s_delay_alu instid0(VALU_DEP_1) | instskip(NEXT) | instid1(VALU_DEP_3)
	v_fma_f64 v[138:139], v[128:129], -0.5, v[106:107]
	v_fma_f64 v[128:129], v[140:141], s[16:17], v[136:137]
	v_fma_f64 v[136:137], v[140:141], s[18:19], v[136:137]
	s_delay_alu instid0(VALU_DEP_3) | instskip(NEXT) | instid1(VALU_DEP_3)
	v_fma_f64 v[130:131], v[144:145], s[18:19], v[138:139]
	v_fma_f64 v[128:129], v[142:143], s[12:13], v[128:129]
	;; [unrolled: 1-line block ×3, first 2 shown]
	s_delay_alu instid0(VALU_DEP_4) | instskip(NEXT) | instid1(VALU_DEP_4)
	v_fma_f64 v[136:137], v[142:143], s[14:15], v[136:137]
	v_fma_f64 v[130:131], v[146:147], s[14:15], v[130:131]
	s_delay_alu instid0(VALU_DEP_4) | instskip(NEXT) | instid1(VALU_DEP_4)
	v_fma_f64 v[128:129], v[132:133], s[20:21], v[128:129]
	v_fma_f64 v[138:139], v[146:147], s[12:13], v[138:139]
	s_delay_alu instid0(VALU_DEP_4) | instskip(SKIP_2) | instid1(VALU_DEP_4)
	v_fma_f64 v[132:133], v[132:133], s[20:21], v[136:137]
	v_add_f64_e32 v[136:137], v[90:91], v[100:101]
	v_fma_f64 v[130:131], v[134:135], s[20:21], v[130:131]
	v_fma_f64 v[134:135], v[134:135], s[20:21], v[138:139]
	v_add_f64_e32 v[138:139], v[88:89], v[102:103]
	s_delay_alu instid0(VALU_DEP_4) | instskip(SKIP_1) | instid1(VALU_DEP_3)
	v_fma_f64 v[136:137], v[136:137], -0.5, v[104:105]
	v_add_f64_e32 v[104:105], v[104:105], v[90:91]
	v_fma_f64 v[138:139], v[138:139], -0.5, v[106:107]
	v_add_f64_e32 v[106:107], v[106:107], v[88:89]
	s_delay_alu instid0(VALU_DEP_3) | instskip(NEXT) | instid1(VALU_DEP_3)
	v_add_f64_e32 v[90:91], v[104:105], v[98:99]
	v_fma_f64 v[104:105], v[146:147], s[18:19], v[138:139]
	s_delay_alu instid0(VALU_DEP_3) | instskip(SKIP_1) | instid1(VALU_DEP_4)
	v_add_f64_e32 v[98:99], v[106:107], v[92:93]
	v_add_f64_e64 v[92:93], v[92:93], -v[88:89]
	v_add_f64_e32 v[88:89], v[90:91], v[96:97]
	v_add_f64_e64 v[96:97], v[96:97], -v[100:101]
	s_delay_alu instid0(VALU_DEP_4) | instskip(SKIP_1) | instid1(VALU_DEP_4)
	v_add_f64_e32 v[90:91], v[98:99], v[94:95]
	v_add_f64_e64 v[94:95], v[94:95], -v[102:103]
	v_add_f64_e32 v[88:89], v[88:89], v[100:101]
	v_fma_f64 v[98:99], v[142:143], s[18:19], v[136:137]
	v_fma_f64 v[100:101], v[142:143], s[16:17], v[136:137]
	v_add_f64_e32 v[96:97], v[148:149], v[96:97]
	v_add_f64_e64 v[148:149], v[74:75], -v[84:85]
	v_add_f64_e32 v[90:91], v[90:91], v[102:103]
	v_fma_f64 v[102:103], v[146:147], s[16:17], v[138:139]
	v_add_f64_e32 v[106:107], v[92:93], v[94:95]
	v_fma_f64 v[92:93], v[140:141], s[12:13], v[98:99]
	v_fma_f64 v[98:99], v[140:141], s[14:15], v[100:101]
	;; [unrolled: 1-line block ×3, first 2 shown]
	v_add_f64_e32 v[104:105], v[80:81], v[82:83]
	v_add_f64_e64 v[146:147], v[76:77], -v[78:79]
	v_fma_f64 v[94:95], v[144:145], s[14:15], v[102:103]
	v_add_f64_e64 v[102:103], v[84:85], -v[82:83]
	v_fma_f64 v[92:93], v[96:97], s[20:21], v[92:93]
	v_fma_f64 v[96:97], v[96:97], s[20:21], v[98:99]
	;; [unrolled: 1-line block ×3, first 2 shown]
	v_add_f64_e64 v[100:101], v[74:75], -v[80:81]
	v_add_f64_e64 v[144:145], v[72:73], -v[86:87]
	v_fma_f64 v[94:95], v[106:107], s[20:21], v[94:95]
	s_delay_alu instid0(VALU_DEP_3) | instskip(SKIP_2) | instid1(VALU_DEP_1)
	v_add_f64_e32 v[136:137], v[100:101], v[102:103]
	v_add_f64_e64 v[100:101], v[72:73], -v[76:77]
	v_add_f64_e64 v[102:103], v[86:87], -v[78:79]
	v_add_f64_e32 v[138:139], v[100:101], v[102:103]
	ds_load_b128 v[100:103], v40 offset:6000
	s_wait_dscnt 0x0
	v_fma_f64 v[140:141], v[104:105], -0.5, v[100:101]
	v_add_f64_e32 v[104:105], v[76:77], v[78:79]
	s_delay_alu instid0(VALU_DEP_1) | instskip(NEXT) | instid1(VALU_DEP_3)
	v_fma_f64 v[142:143], v[104:105], -0.5, v[102:103]
	v_fma_f64 v[104:105], v[144:145], s[16:17], v[140:141]
	v_fma_f64 v[140:141], v[144:145], s[18:19], v[140:141]
	s_delay_alu instid0(VALU_DEP_3) | instskip(NEXT) | instid1(VALU_DEP_3)
	v_fma_f64 v[106:107], v[148:149], s[18:19], v[142:143]
	v_fma_f64 v[104:105], v[146:147], s[12:13], v[104:105]
	v_fma_f64 v[142:143], v[148:149], s[16:17], v[142:143]
	s_delay_alu instid0(VALU_DEP_4) | instskip(NEXT) | instid1(VALU_DEP_4)
	v_fma_f64 v[140:141], v[146:147], s[14:15], v[140:141]
	v_fma_f64 v[106:107], v[155:156], s[14:15], v[106:107]
	s_delay_alu instid0(VALU_DEP_4) | instskip(NEXT) | instid1(VALU_DEP_4)
	v_fma_f64 v[104:105], v[136:137], s[20:21], v[104:105]
	v_fma_f64 v[142:143], v[155:156], s[12:13], v[142:143]
	s_delay_alu instid0(VALU_DEP_4) | instskip(SKIP_2) | instid1(VALU_DEP_4)
	v_fma_f64 v[136:137], v[136:137], s[20:21], v[140:141]
	v_add_f64_e32 v[140:141], v[74:75], v[84:85]
	v_fma_f64 v[106:107], v[138:139], s[20:21], v[106:107]
	v_fma_f64 v[138:139], v[138:139], s[20:21], v[142:143]
	v_add_f64_e32 v[142:143], v[72:73], v[86:87]
	s_delay_alu instid0(VALU_DEP_4) | instskip(SKIP_1) | instid1(VALU_DEP_3)
	v_fma_f64 v[140:141], v[140:141], -0.5, v[100:101]
	v_add_f64_e32 v[100:101], v[100:101], v[74:75]
	v_fma_f64 v[142:143], v[142:143], -0.5, v[102:103]
	v_add_f64_e32 v[102:103], v[102:103], v[72:73]
	s_delay_alu instid0(VALU_DEP_3) | instskip(NEXT) | instid1(VALU_DEP_3)
	v_add_f64_e32 v[74:75], v[100:101], v[80:81]
	v_fma_f64 v[100:101], v[155:156], s[18:19], v[142:143]
	s_delay_alu instid0(VALU_DEP_3) | instskip(SKIP_1) | instid1(VALU_DEP_4)
	v_add_f64_e32 v[80:81], v[102:103], v[76:77]
	v_add_f64_e64 v[76:77], v[76:77], -v[72:73]
	v_add_f64_e32 v[72:73], v[74:75], v[82:83]
	s_delay_alu instid0(VALU_DEP_3) | instskip(SKIP_1) | instid1(VALU_DEP_3)
	v_add_f64_e32 v[74:75], v[80:81], v[78:79]
	v_add_f64_e64 v[80:81], v[82:83], -v[84:85]
	v_add_f64_e32 v[72:73], v[72:73], v[84:85]
	v_add_f64_e64 v[78:79], v[78:79], -v[86:87]
	v_fma_f64 v[82:83], v[146:147], s[18:19], v[140:141]
	v_fma_f64 v[84:85], v[146:147], s[16:17], v[140:141]
	v_add_f64_e32 v[74:75], v[74:75], v[86:87]
	v_fma_f64 v[86:87], v[155:156], s[16:17], v[142:143]
	v_add_f64_e32 v[80:81], v[157:158], v[80:81]
	v_add_f64_e32 v[102:103], v[76:77], v[78:79]
	v_fma_f64 v[76:77], v[144:145], s[12:13], v[82:83]
	v_fma_f64 v[82:83], v[144:145], s[14:15], v[84:85]
	;; [unrolled: 1-line block ×3, first 2 shown]
	v_add_f64_e32 v[100:101], v[66:67], v[64:65]
	v_add_f64_e64 v[155:156], v[60:61], -v[62:63]
	v_add_f64_e64 v[157:158], v[58:59], -v[68:69]
	v_fma_f64 v[78:79], v[148:149], s[14:15], v[86:87]
	v_add_f64_e64 v[86:87], v[68:69], -v[64:65]
	v_add_f64_e64 v[148:149], v[56:57], -v[70:71]
	v_fma_f64 v[76:77], v[80:81], s[20:21], v[76:77]
	v_fma_f64 v[80:81], v[80:81], s[20:21], v[82:83]
	;; [unrolled: 1-line block ×3, first 2 shown]
	v_add_f64_e64 v[84:85], v[58:59], -v[66:67]
	v_fma_f64 v[78:79], v[102:103], s[20:21], v[78:79]
	s_delay_alu instid0(VALU_DEP_2) | instskip(SKIP_2) | instid1(VALU_DEP_1)
	v_add_f64_e32 v[140:141], v[84:85], v[86:87]
	v_add_f64_e64 v[84:85], v[56:57], -v[60:61]
	v_add_f64_e64 v[86:87], v[70:71], -v[62:63]
	v_add_f64_e32 v[142:143], v[84:85], v[86:87]
	ds_load_b128 v[84:87], v40 offset:8000
	s_wait_dscnt 0x0
	v_fma_f64 v[144:145], v[100:101], -0.5, v[84:85]
	v_add_f64_e32 v[100:101], v[60:61], v[62:63]
	s_delay_alu instid0(VALU_DEP_1) | instskip(NEXT) | instid1(VALU_DEP_3)
	v_fma_f64 v[146:147], v[100:101], -0.5, v[86:87]
	v_fma_f64 v[100:101], v[148:149], s[16:17], v[144:145]
	v_fma_f64 v[144:145], v[148:149], s[18:19], v[144:145]
	s_delay_alu instid0(VALU_DEP_3) | instskip(NEXT) | instid1(VALU_DEP_3)
	v_fma_f64 v[102:103], v[157:158], s[18:19], v[146:147]
	v_fma_f64 v[100:101], v[155:156], s[12:13], v[100:101]
	;; [unrolled: 1-line block ×3, first 2 shown]
	s_delay_alu instid0(VALU_DEP_4) | instskip(NEXT) | instid1(VALU_DEP_4)
	v_fma_f64 v[144:145], v[155:156], s[14:15], v[144:145]
	v_fma_f64 v[102:103], v[159:160], s[14:15], v[102:103]
	s_delay_alu instid0(VALU_DEP_4) | instskip(NEXT) | instid1(VALU_DEP_4)
	v_fma_f64 v[100:101], v[140:141], s[20:21], v[100:101]
	v_fma_f64 v[146:147], v[159:160], s[12:13], v[146:147]
	s_delay_alu instid0(VALU_DEP_4) | instskip(SKIP_2) | instid1(VALU_DEP_4)
	v_fma_f64 v[140:141], v[140:141], s[20:21], v[144:145]
	v_add_f64_e32 v[144:145], v[58:59], v[68:69]
	v_fma_f64 v[102:103], v[142:143], s[20:21], v[102:103]
	v_fma_f64 v[142:143], v[142:143], s[20:21], v[146:147]
	v_add_f64_e32 v[146:147], v[56:57], v[70:71]
	s_delay_alu instid0(VALU_DEP_4) | instskip(SKIP_1) | instid1(VALU_DEP_3)
	v_fma_f64 v[144:145], v[144:145], -0.5, v[84:85]
	v_add_f64_e32 v[84:85], v[84:85], v[58:59]
	v_fma_f64 v[146:147], v[146:147], -0.5, v[86:87]
	v_add_f64_e32 v[86:87], v[86:87], v[56:57]
	s_delay_alu instid0(VALU_DEP_3) | instskip(NEXT) | instid1(VALU_DEP_3)
	v_add_f64_e32 v[58:59], v[84:85], v[66:67]
	v_fma_f64 v[84:85], v[159:160], s[18:19], v[146:147]
	s_delay_alu instid0(VALU_DEP_3) | instskip(SKIP_1) | instid1(VALU_DEP_4)
	v_add_f64_e32 v[66:67], v[86:87], v[60:61]
	v_add_f64_e64 v[60:61], v[60:61], -v[56:57]
	v_add_f64_e32 v[56:57], v[58:59], v[64:65]
	v_add_f64_e64 v[64:65], v[64:65], -v[68:69]
	s_delay_alu instid0(VALU_DEP_4) | instskip(SKIP_1) | instid1(VALU_DEP_4)
	v_add_f64_e32 v[58:59], v[66:67], v[62:63]
	v_add_f64_e64 v[62:63], v[62:63], -v[70:71]
	v_add_f64_e32 v[56:57], v[56:57], v[68:69]
	v_fma_f64 v[66:67], v[155:156], s[18:19], v[144:145]
	v_fma_f64 v[68:69], v[155:156], s[16:17], v[144:145]
	v_add_f64_e32 v[64:65], v[161:162], v[64:65]
	v_add_f64_e64 v[161:162], v[42:43], -v[52:53]
	v_add_f64_e32 v[58:59], v[58:59], v[70:71]
	v_fma_f64 v[70:71], v[159:160], s[16:17], v[146:147]
	v_add_f64_e32 v[86:87], v[60:61], v[62:63]
	v_fma_f64 v[60:61], v[148:149], s[12:13], v[66:67]
	v_fma_f64 v[66:67], v[148:149], s[14:15], v[68:69]
	;; [unrolled: 1-line block ×3, first 2 shown]
	v_add_f64_e32 v[84:85], v[50:51], v[48:49]
	v_add_f64_e64 v[159:160], v[44:45], -v[46:47]
	v_fma_f64 v[62:63], v[157:158], s[14:15], v[70:71]
	v_add_f64_e64 v[70:71], v[52:53], -v[48:49]
	v_fma_f64 v[60:61], v[64:65], s[20:21], v[60:61]
	v_fma_f64 v[64:65], v[64:65], s[20:21], v[66:67]
	v_fma_f64 v[66:67], v[86:87], s[20:21], v[68:69]
	v_add_f64_e64 v[68:69], v[42:43], -v[50:51]
	v_add_f64_e64 v[157:158], v[108:109], -v[54:55]
	v_fma_f64 v[62:63], v[86:87], s[20:21], v[62:63]
	s_delay_alu instid0(VALU_DEP_3) | instskip(SKIP_2) | instid1(VALU_DEP_1)
	v_add_f64_e32 v[144:145], v[68:69], v[70:71]
	v_add_f64_e64 v[68:69], v[108:109], -v[44:45]
	v_add_f64_e64 v[70:71], v[54:55], -v[46:47]
	v_add_f64_e32 v[146:147], v[68:69], v[70:71]
	ds_load_b128 v[68:71], v40 offset:10000
	s_wait_dscnt 0x0
	v_fma_f64 v[148:149], v[84:85], -0.5, v[68:69]
	v_add_f64_e32 v[84:85], v[44:45], v[46:47]
	s_delay_alu instid0(VALU_DEP_1) | instskip(NEXT) | instid1(VALU_DEP_3)
	v_fma_f64 v[155:156], v[84:85], -0.5, v[70:71]
	v_fma_f64 v[84:85], v[157:158], s[16:17], v[148:149]
	v_fma_f64 v[148:149], v[157:158], s[18:19], v[148:149]
	s_delay_alu instid0(VALU_DEP_3) | instskip(SKIP_1) | instid1(VALU_DEP_4)
	v_fma_f64 v[86:87], v[161:162], s[18:19], v[155:156]
	v_fma_f64 v[155:156], v[161:162], s[16:17], v[155:156]
	;; [unrolled: 1-line block ×3, first 2 shown]
	s_delay_alu instid0(VALU_DEP_4) | instskip(NEXT) | instid1(VALU_DEP_4)
	v_fma_f64 v[148:149], v[159:160], s[14:15], v[148:149]
	v_fma_f64 v[86:87], v[163:164], s[14:15], v[86:87]
	s_delay_alu instid0(VALU_DEP_4) | instskip(NEXT) | instid1(VALU_DEP_4)
	v_fma_f64 v[155:156], v[163:164], s[12:13], v[155:156]
	v_fma_f64 v[84:85], v[144:145], s[20:21], v[84:85]
	s_delay_alu instid0(VALU_DEP_4) | instskip(SKIP_4) | instid1(VALU_DEP_4)
	v_fma_f64 v[144:145], v[144:145], s[20:21], v[148:149]
	v_add_f64_e32 v[148:149], v[42:43], v[52:53]
	v_fma_f64 v[86:87], v[146:147], s[20:21], v[86:87]
	v_fma_f64 v[146:147], v[146:147], s[20:21], v[155:156]
	v_add_f64_e32 v[155:156], v[108:109], v[54:55]
	v_fma_f64 v[148:149], v[148:149], -0.5, v[68:69]
	v_add_f64_e32 v[68:69], v[68:69], v[42:43]
	s_delay_alu instid0(VALU_DEP_3) | instskip(SKIP_1) | instid1(VALU_DEP_3)
	v_fma_f64 v[155:156], v[155:156], -0.5, v[70:71]
	v_add_f64_e32 v[70:71], v[70:71], v[108:109]
	v_add_f64_e32 v[42:43], v[68:69], v[50:51]
	v_add_f64_e64 v[68:69], v[44:45], -v[108:109]
	s_delay_alu instid0(VALU_DEP_3) | instskip(SKIP_1) | instid1(VALU_DEP_4)
	v_add_f64_e32 v[50:51], v[70:71], v[44:45]
	v_fma_f64 v[70:71], v[163:164], s[18:19], v[155:156]
	v_add_f64_e32 v[42:43], v[42:43], v[48:49]
	v_add_f64_e64 v[48:49], v[48:49], -v[52:53]
	s_delay_alu instid0(VALU_DEP_4)
	v_add_f64_e32 v[44:45], v[50:51], v[46:47]
	v_add_f64_e64 v[46:47], v[46:47], -v[54:55]
	v_fma_f64 v[50:51], v[159:160], s[18:19], v[148:149]
	v_add_f64_e32 v[42:43], v[42:43], v[52:53]
	v_fma_f64 v[52:53], v[159:160], s[16:17], v[148:149]
	v_add_f64_e32 v[108:109], v[165:166], v[48:49]
	v_add_f64_e32 v[44:45], v[44:45], v[54:55]
	v_fma_f64 v[54:55], v[163:164], s[16:17], v[155:156]
	v_add_f64_e32 v[68:69], v[68:69], v[46:47]
	v_fma_f64 v[46:47], v[157:158], s[12:13], v[50:51]
	v_fma_f64 v[50:51], v[157:158], s[14:15], v[52:53]
	;; [unrolled: 1-line block ×4, first 2 shown]
	v_and_b32_e32 v54, 0xffff, v116
	v_fma_f64 v[46:47], v[108:109], s[20:21], v[46:47]
	v_fma_f64 v[50:51], v[108:109], s[20:21], v[50:51]
	;; [unrolled: 1-line block ×3, first 2 shown]
	s_delay_alu instid0(VALU_DEP_4) | instskip(NEXT) | instid1(VALU_DEP_1)
	v_mul_u32_u24_e32 v54, 15, v54
	v_add_lshl_u32 v54, v54, v117, 4
	scratch_store_b32 off, v54, off offset:1272 ; 4-byte Folded Spill
	global_wb scope:SCOPE_SE
	s_wait_storecnt 0x0
	s_barrier_signal -1
	s_barrier_wait -1
	global_inv scope:SCOPE_SE
	ds_store_b128 v54, v[8:11]
	ds_store_b128 v54, v[4:7] offset:48
	ds_store_b128 v54, v[16:19] offset:96
	;; [unrolled: 1-line block ×4, first 2 shown]
	v_and_b32_e32 v0, 0xffff, v118
	s_delay_alu instid0(VALU_DEP_1) | instskip(NEXT) | instid1(VALU_DEP_1)
	v_mul_u32_u24_e32 v0, 15, v0
	v_add_lshl_u32 v0, v0, v119, 4
	scratch_store_b32 off, v0, off offset:1184 ; 4-byte Folded Spill
	ds_store_b128 v0, v[28:31]
	ds_store_b128 v0, v[24:27] offset:48
	ds_store_b128 v0, v[36:39] offset:96
	;; [unrolled: 1-line block ×4, first 2 shown]
	v_mad_u16 v0, v120, 15, v121
	v_fma_f64 v[48:49], v[68:69], s[20:21], v[48:49]
	s_delay_alu instid0(VALU_DEP_2) | instskip(NEXT) | instid1(VALU_DEP_1)
	v_and_b32_e32 v0, 0xffff, v0
	v_lshlrev_b32_e32 v0, 4, v0
	scratch_store_b32 off, v0, off offset:1116 ; 4-byte Folded Spill
	ds_store_b128 v0, v[88:91]
	ds_store_b128 v0, v[128:131] offset:48
	ds_store_b128 v0, v[92:95] offset:96
	ds_store_b128 v0, v[96:99] offset:144
	ds_store_b128 v0, v[132:135] offset:192
	v_mad_u16 v0, v122, 15, v123
	s_delay_alu instid0(VALU_DEP_1) | instskip(NEXT) | instid1(VALU_DEP_1)
	v_and_b32_e32 v0, 0xffff, v0
	v_lshlrev_b32_e32 v0, 4, v0
	scratch_store_b32 off, v0, off offset:1044 ; 4-byte Folded Spill
	ds_store_b128 v0, v[72:75]
	ds_store_b128 v0, v[104:107] offset:48
	ds_store_b128 v0, v[76:79] offset:96
	ds_store_b128 v0, v[80:83] offset:144
	ds_store_b128 v0, v[136:139] offset:192
	v_mad_u16 v0, v124, 15, v125
	s_delay_alu instid0(VALU_DEP_1) | instskip(NEXT) | instid1(VALU_DEP_1)
	;; [unrolled: 10-line block ×3, first 2 shown]
	v_and_b32_e32 v0, 0xffff, v0
	v_lshlrev_b32_e32 v0, 4, v0
	ds_store_b128 v0, v[42:45]
	ds_store_b128 v0, v[84:87] offset:48
	ds_store_b128 v0, v[46:49] offset:96
	;; [unrolled: 1-line block ×3, first 2 shown]
	scratch_store_b32 off, v0, off offset:1340 ; 4-byte Folded Spill
	ds_store_b128 v0, v[144:147] offset:192
	v_mul_lo_u16 v0, 0x89, v112
	global_wb scope:SCOPE_SE
	s_wait_storecnt_dscnt 0x0
	s_barrier_signal -1
	s_barrier_wait -1
	global_inv scope:SCOPE_SE
	v_lshrrev_b16 v106, 11, v0
	s_delay_alu instid0(VALU_DEP_1) | instskip(NEXT) | instid1(VALU_DEP_1)
	v_mul_lo_u16 v0, v106, 15
	v_sub_nc_u16 v0, v41, v0
	s_delay_alu instid0(VALU_DEP_1)
	v_and_b32_e32 v107, 0xff, v0
	ds_load_b128 v[0:3], v40 offset:12000
	v_lshlrev_b32_e32 v6, 6, v107
	global_load_b128 v[7:10], v6, s[10:11] offset:192
	s_wait_loadcnt_dscnt 0x0
	v_mul_f64_e32 v[4:5], v[2:3], v[9:10]
	scratch_store_b128 off, v[7:10], off offset:888 ; 16-byte Folded Spill
	v_fma_f64 v[12:13], v[0:1], v[7:8], -v[4:5]
	v_mul_f64_e32 v[0:1], v[0:1], v[9:10]
	s_delay_alu instid0(VALU_DEP_1)
	v_fma_f64 v[14:15], v[2:3], v[7:8], v[0:1]
	global_load_b128 v[7:10], v6, s[10:11] offset:208
	ds_load_b128 v[0:3], v40 offset:24000
	s_wait_loadcnt_dscnt 0x0
	v_mul_f64_e32 v[4:5], v[2:3], v[9:10]
	scratch_store_b128 off, v[7:10], off offset:904 ; 16-byte Folded Spill
	v_fma_f64 v[16:17], v[0:1], v[7:8], -v[4:5]
	v_mul_f64_e32 v[0:1], v[0:1], v[9:10]
	s_delay_alu instid0(VALU_DEP_1)
	v_fma_f64 v[18:19], v[2:3], v[7:8], v[0:1]
	global_load_b128 v[7:10], v6, s[10:11] offset:224
	ds_load_b128 v[0:3], v40 offset:36000
	s_wait_loadcnt_dscnt 0x0
	v_mul_f64_e32 v[4:5], v[2:3], v[9:10]
	scratch_store_b128 off, v[7:10], off offset:920 ; 16-byte Folded Spill
	v_fma_f64 v[20:21], v[0:1], v[7:8], -v[4:5]
	v_mul_f64_e32 v[0:1], v[0:1], v[9:10]
	s_delay_alu instid0(VALU_DEP_2) | instskip(NEXT) | instid1(VALU_DEP_2)
	v_add_f64_e64 v[134:135], v[16:17], -v[20:21]
	v_fma_f64 v[22:23], v[2:3], v[7:8], v[0:1]
	global_load_b128 v[6:9], v6, s[10:11] offset:240
	ds_load_b128 v[0:3], v40 offset:48000
	v_add_f64_e64 v[130:131], v[18:19], -v[22:23]
	s_wait_loadcnt_dscnt 0x0
	v_mul_f64_e32 v[4:5], v[2:3], v[8:9]
	scratch_store_b128 off, v[6:9], off offset:936 ; 16-byte Folded Spill
	v_fma_f64 v[24:25], v[0:1], v[6:7], -v[4:5]
	v_mul_f64_e32 v[0:1], v[0:1], v[8:9]
	s_delay_alu instid0(VALU_DEP_2) | instskip(NEXT) | instid1(VALU_DEP_2)
	v_add_f64_e64 v[132:133], v[12:13], -v[24:25]
	v_fma_f64 v[26:27], v[2:3], v[6:7], v[0:1]
	v_mul_lo_u16 v0, 0x89, v111
	s_delay_alu instid0(VALU_DEP_1) | instskip(NEXT) | instid1(VALU_DEP_1)
	v_lshrrev_b16 v108, 11, v0
	v_mul_lo_u16 v0, v108, 15
	s_delay_alu instid0(VALU_DEP_1) | instskip(NEXT) | instid1(VALU_DEP_1)
	v_sub_nc_u16 v0, v153, v0
	v_and_b32_e32 v109, 0xff, v0
	ds_load_b128 v[0:3], v40 offset:14000
	v_lshlrev_b32_e32 v6, 6, v109
	global_load_b128 v[7:10], v6, s[10:11] offset:192
	v_add_f64_e64 v[128:129], v[14:15], -v[26:27]
	s_wait_loadcnt_dscnt 0x0
	v_mul_f64_e32 v[4:5], v[2:3], v[9:10]
	scratch_store_b128 off, v[7:10], off offset:972 ; 16-byte Folded Spill
	v_fma_f64 v[32:33], v[0:1], v[7:8], -v[4:5]
	v_mul_f64_e32 v[0:1], v[0:1], v[9:10]
	s_delay_alu instid0(VALU_DEP_1)
	v_fma_f64 v[34:35], v[2:3], v[7:8], v[0:1]
	global_load_b128 v[7:10], v6, s[10:11] offset:208
	ds_load_b128 v[0:3], v40 offset:26000
	s_wait_loadcnt_dscnt 0x0
	v_mul_f64_e32 v[4:5], v[2:3], v[9:10]
	scratch_store_b128 off, v[7:10], off offset:988 ; 16-byte Folded Spill
	v_fma_f64 v[36:37], v[0:1], v[7:8], -v[4:5]
	v_mul_f64_e32 v[0:1], v[0:1], v[9:10]
	s_delay_alu instid0(VALU_DEP_1)
	v_fma_f64 v[38:39], v[2:3], v[7:8], v[0:1]
	global_load_b128 v[7:10], v6, s[10:11] offset:224
	ds_load_b128 v[0:3], v40 offset:38000
	s_wait_loadcnt_dscnt 0x0
	v_mul_f64_e32 v[4:5], v[2:3], v[9:10]
	scratch_store_b128 off, v[7:10], off offset:1004 ; 16-byte Folded Spill
	v_fma_f64 v[120:121], v[0:1], v[7:8], -v[4:5]
	v_mul_f64_e32 v[0:1], v[0:1], v[9:10]
	s_delay_alu instid0(VALU_DEP_2) | instskip(NEXT) | instid1(VALU_DEP_2)
	v_add_f64_e64 v[138:139], v[36:37], -v[120:121]
	v_fma_f64 v[122:123], v[2:3], v[7:8], v[0:1]
	global_load_b128 v[6:9], v6, s[10:11] offset:240
	ds_load_b128 v[0:3], v40 offset:50000
	s_wait_loadcnt_dscnt 0x0
	v_mul_f64_e32 v[4:5], v[2:3], v[8:9]
	scratch_store_b128 off, v[6:9], off offset:1020 ; 16-byte Folded Spill
	v_fma_f64 v[124:125], v[0:1], v[6:7], -v[4:5]
	v_mul_f64_e32 v[0:1], v[0:1], v[8:9]
	s_delay_alu instid0(VALU_DEP_2) | instskip(NEXT) | instid1(VALU_DEP_2)
	v_add_f64_e64 v[136:137], v[32:33], -v[124:125]
	v_fma_f64 v[126:127], v[2:3], v[6:7], v[0:1]
	v_mul_u32_u24_e32 v0, 0x8889, v110
	s_delay_alu instid0(VALU_DEP_1) | instskip(NEXT) | instid1(VALU_DEP_1)
	v_lshrrev_b32_e32 v112, 19, v0
	v_mul_lo_u16 v0, v112, 15
	s_delay_alu instid0(VALU_DEP_1) | instskip(NEXT) | instid1(VALU_DEP_1)
	v_sub_nc_u16 v116, v154, v0
	v_lshlrev_b16 v0, 6, v116
	s_delay_alu instid0(VALU_DEP_1) | instskip(NEXT) | instid1(VALU_DEP_1)
	v_and_b32_e32 v0, 0xffff, v0
	v_add_co_u32 v4, s26, s10, v0
	s_delay_alu instid0(VALU_DEP_1)
	v_add_co_ci_u32_e64 v5, null, s11, 0, s26
	ds_load_b128 v[0:3], v40 offset:16000
	global_load_b128 v[8:11], v[4:5], off offset:192
	s_wait_loadcnt_dscnt 0x0
	v_mul_f64_e32 v[6:7], v[2:3], v[10:11]
	scratch_store_b128 off, v[8:11], off offset:1052 ; 16-byte Folded Spill
	v_fma_f64 v[90:91], v[0:1], v[8:9], -v[6:7]
	v_mul_f64_e32 v[0:1], v[0:1], v[10:11]
	s_delay_alu instid0(VALU_DEP_1)
	v_fma_f64 v[88:89], v[2:3], v[8:9], v[0:1]
	global_load_b128 v[8:11], v[4:5], off offset:208
	ds_load_b128 v[0:3], v40 offset:28000
	s_wait_loadcnt_dscnt 0x0
	v_mul_f64_e32 v[6:7], v[2:3], v[10:11]
	scratch_store_b128 off, v[8:11], off offset:1068 ; 16-byte Folded Spill
	v_fma_f64 v[98:99], v[0:1], v[8:9], -v[6:7]
	v_mul_f64_e32 v[0:1], v[0:1], v[10:11]
	s_delay_alu instid0(VALU_DEP_2) | instskip(NEXT) | instid1(VALU_DEP_2)
	v_add_f64_e64 v[144:145], v[98:99], -v[90:91]
	v_fma_f64 v[92:93], v[2:3], v[8:9], v[0:1]
	global_load_b128 v[8:11], v[4:5], off offset:224
	ds_load_b128 v[0:3], v40 offset:40000
	s_wait_loadcnt_dscnt 0x0
	v_mul_f64_e32 v[6:7], v[2:3], v[10:11]
	scratch_store_b128 off, v[8:11], off offset:1084 ; 16-byte Folded Spill
	v_fma_f64 v[96:97], v[0:1], v[8:9], -v[6:7]
	v_mul_f64_e32 v[0:1], v[0:1], v[10:11]
	s_delay_alu instid0(VALU_DEP_2) | instskip(NEXT) | instid1(VALU_DEP_2)
	v_add_f64_e64 v[142:143], v[98:99], -v[96:97]
	;; [unrolled: 10-line block ×3, first 2 shown]
	v_fma_f64 v[102:103], v[2:3], v[6:7], v[0:1]
	v_mul_u32_u24_e32 v0, 0x8889, v115
	s_delay_alu instid0(VALU_DEP_1) | instskip(NEXT) | instid1(VALU_DEP_1)
	v_lshrrev_b32_e32 v115, 19, v0
	v_mul_lo_u16 v0, v115, 15
	s_delay_alu instid0(VALU_DEP_1) | instskip(NEXT) | instid1(VALU_DEP_1)
	v_sub_nc_u16 v117, v152, v0
	v_lshlrev_b16 v0, 6, v117
	s_delay_alu instid0(VALU_DEP_1) | instskip(NEXT) | instid1(VALU_DEP_1)
	v_and_b32_e32 v0, 0xffff, v0
	v_add_co_u32 v4, s26, s10, v0
	s_wait_alu 0xf1ff
	v_add_co_ci_u32_e64 v5, null, s11, 0, s26
	ds_load_b128 v[0:3], v40 offset:18000
	global_load_b128 v[8:11], v[4:5], off offset:192
	s_wait_loadcnt_dscnt 0x0
	v_mul_f64_e32 v[6:7], v[2:3], v[10:11]
	scratch_store_b128 off, v[8:11], off offset:1120 ; 16-byte Folded Spill
	v_fma_f64 v[74:75], v[0:1], v[8:9], -v[6:7]
	v_mul_f64_e32 v[0:1], v[0:1], v[10:11]
	s_delay_alu instid0(VALU_DEP_1)
	v_fma_f64 v[72:73], v[2:3], v[8:9], v[0:1]
	global_load_b128 v[8:11], v[4:5], off offset:208
	ds_load_b128 v[0:3], v40 offset:30000
	s_wait_loadcnt_dscnt 0x0
	v_mul_f64_e32 v[6:7], v[2:3], v[10:11]
	scratch_store_b128 off, v[8:11], off offset:1136 ; 16-byte Folded Spill
	v_fma_f64 v[80:81], v[0:1], v[8:9], -v[6:7]
	v_mul_f64_e32 v[0:1], v[0:1], v[10:11]
	s_delay_alu instid0(VALU_DEP_2) | instskip(NEXT) | instid1(VALU_DEP_2)
	v_add_f64_e64 v[148:149], v[80:81], -v[74:75]
	v_fma_f64 v[76:77], v[2:3], v[8:9], v[0:1]
	global_load_b128 v[8:11], v[4:5], off offset:224
	ds_load_b128 v[0:3], v40 offset:42000
	s_wait_loadcnt_dscnt 0x0
	v_mul_f64_e32 v[6:7], v[2:3], v[10:11]
	scratch_store_b128 off, v[8:11], off offset:1152 ; 16-byte Folded Spill
	v_fma_f64 v[82:83], v[0:1], v[8:9], -v[6:7]
	v_mul_f64_e32 v[0:1], v[0:1], v[10:11]
	s_delay_alu instid0(VALU_DEP_2) | instskip(NEXT) | instid1(VALU_DEP_2)
	v_add_f64_e64 v[146:147], v[80:81], -v[82:83]
	v_fma_f64 v[78:79], v[2:3], v[8:9], v[0:1]
	global_load_b128 v[6:9], v[4:5], off offset:240
	ds_load_b128 v[0:3], v40 offset:54000
	s_wait_loadcnt_dscnt 0x0
	v_mul_f64_e32 v[4:5], v[2:3], v[8:9]
	scratch_store_b128 off, v[6:9], off offset:1168 ; 16-byte Folded Spill
	v_fma_f64 v[84:85], v[0:1], v[6:7], -v[4:5]
	v_mul_f64_e32 v[0:1], v[0:1], v[8:9]
	s_delay_alu instid0(VALU_DEP_1) | instskip(SKIP_1) | instid1(VALU_DEP_1)
	v_fma_f64 v[86:87], v[2:3], v[6:7], v[0:1]
	v_mul_u32_u24_e32 v0, 0x8889, v114
	v_lshrrev_b32_e32 v114, 19, v0
	s_delay_alu instid0(VALU_DEP_1) | instskip(NEXT) | instid1(VALU_DEP_1)
	v_mul_lo_u16 v0, v114, 15
	v_sub_nc_u16 v118, v151, v0
	s_delay_alu instid0(VALU_DEP_1) | instskip(NEXT) | instid1(VALU_DEP_1)
	v_lshlrev_b16 v0, 6, v118
	v_and_b32_e32 v0, 0xffff, v0
	s_delay_alu instid0(VALU_DEP_1)
	v_add_co_u32 v4, s26, s10, v0
	s_wait_alu 0xf1ff
	v_add_co_ci_u32_e64 v5, null, s11, 0, s26
	ds_load_b128 v[0:3], v40 offset:20000
	global_load_b128 v[8:11], v[4:5], off offset:192
	s_wait_loadcnt_dscnt 0x0
	v_mul_f64_e32 v[6:7], v[2:3], v[10:11]
	scratch_store_b128 off, v[8:11], off offset:1188 ; 16-byte Folded Spill
	v_fma_f64 v[58:59], v[0:1], v[8:9], -v[6:7]
	v_mul_f64_e32 v[0:1], v[0:1], v[10:11]
	s_delay_alu instid0(VALU_DEP_1)
	v_fma_f64 v[56:57], v[2:3], v[8:9], v[0:1]
	global_load_b128 v[8:11], v[4:5], off offset:208
	ds_load_b128 v[0:3], v40 offset:32000
	s_wait_loadcnt_dscnt 0x0
	v_mul_f64_e32 v[6:7], v[2:3], v[10:11]
	scratch_store_b128 off, v[8:11], off offset:1208 ; 16-byte Folded Spill
	v_fma_f64 v[66:67], v[0:1], v[8:9], -v[6:7]
	v_mul_f64_e32 v[0:1], v[0:1], v[10:11]
	s_delay_alu instid0(VALU_DEP_2) | instskip(NEXT) | instid1(VALU_DEP_2)
	v_add_f64_e64 v[157:158], v[66:67], -v[58:59]
	v_fma_f64 v[60:61], v[2:3], v[8:9], v[0:1]
	global_load_b128 v[8:11], v[4:5], off offset:224
	ds_load_b128 v[0:3], v40 offset:44000
	s_wait_loadcnt_dscnt 0x0
	v_mul_f64_e32 v[6:7], v[2:3], v[10:11]
	scratch_store_b128 off, v[8:11], off offset:1224 ; 16-byte Folded Spill
	v_fma_f64 v[64:65], v[0:1], v[8:9], -v[6:7]
	v_mul_f64_e32 v[0:1], v[0:1], v[10:11]
	s_delay_alu instid0(VALU_DEP_2) | instskip(NEXT) | instid1(VALU_DEP_2)
	v_add_f64_e64 v[155:156], v[66:67], -v[64:65]
	v_fma_f64 v[62:63], v[2:3], v[8:9], v[0:1]
	global_load_b128 v[6:9], v[4:5], off offset:240
	ds_load_b128 v[0:3], v40 offset:56000
	s_wait_loadcnt_dscnt 0x0
	v_mul_f64_e32 v[4:5], v[2:3], v[8:9]
	scratch_store_b128 off, v[6:9], off offset:1240 ; 16-byte Folded Spill
	v_fma_f64 v[68:69], v[0:1], v[6:7], -v[4:5]
	v_mul_f64_e32 v[0:1], v[0:1], v[8:9]
	s_delay_alu instid0(VALU_DEP_1) | instskip(SKIP_1) | instid1(VALU_DEP_1)
	v_fma_f64 v[70:71], v[2:3], v[6:7], v[0:1]
	v_mul_u32_u24_e32 v0, 0x8889, v113
	v_lshrrev_b32_e32 v113, 19, v0
	s_delay_alu instid0(VALU_DEP_1) | instskip(NEXT) | instid1(VALU_DEP_1)
	v_mul_lo_u16 v0, v113, 15
	v_sub_nc_u16 v119, v176, v0
	s_delay_alu instid0(VALU_DEP_1) | instskip(NEXT) | instid1(VALU_DEP_1)
	v_lshlrev_b16 v0, 6, v119
	v_and_b32_e32 v0, 0xffff, v0
	s_delay_alu instid0(VALU_DEP_1)
	v_add_co_u32 v4, s26, s10, v0
	s_wait_alu 0xf1ff
	v_add_co_ci_u32_e64 v5, null, s11, 0, s26
	ds_load_b128 v[0:3], v40 offset:22000
	global_load_b128 v[8:11], v[4:5], off offset:192
	s_wait_loadcnt_dscnt 0x0
	v_mul_f64_e32 v[6:7], v[2:3], v[10:11]
	scratch_store_b128 off, v[8:11], off offset:1324 ; 16-byte Folded Spill
	v_fma_f64 v[42:43], v[0:1], v[8:9], -v[6:7]
	v_mul_f64_e32 v[0:1], v[0:1], v[10:11]
	s_delay_alu instid0(VALU_DEP_1)
	v_fma_f64 v[104:105], v[2:3], v[8:9], v[0:1]
	global_load_b128 v[8:11], v[4:5], off offset:208
	ds_load_b128 v[0:3], v40 offset:34000
	s_wait_loadcnt_dscnt 0x0
	v_mul_f64_e32 v[6:7], v[2:3], v[10:11]
	scratch_store_b128 off, v[8:11], off offset:1344 ; 16-byte Folded Spill
	v_fma_f64 v[50:51], v[0:1], v[8:9], -v[6:7]
	v_mul_f64_e32 v[0:1], v[0:1], v[10:11]
	s_delay_alu instid0(VALU_DEP_2) | instskip(NEXT) | instid1(VALU_DEP_2)
	v_add_f64_e64 v[161:162], v[50:51], -v[42:43]
	v_fma_f64 v[44:45], v[2:3], v[8:9], v[0:1]
	global_load_b128 v[8:11], v[4:5], off offset:224
	ds_load_b128 v[0:3], v40 offset:46000
	s_wait_loadcnt_dscnt 0x0
	v_mul_f64_e32 v[6:7], v[2:3], v[10:11]
	scratch_store_b128 off, v[8:11], off offset:1360 ; 16-byte Folded Spill
	v_fma_f64 v[48:49], v[0:1], v[8:9], -v[6:7]
	v_mul_f64_e32 v[0:1], v[0:1], v[10:11]
	s_delay_alu instid0(VALU_DEP_2) | instskip(NEXT) | instid1(VALU_DEP_2)
	v_add_f64_e64 v[159:160], v[50:51], -v[48:49]
	v_fma_f64 v[46:47], v[2:3], v[8:9], v[0:1]
	global_load_b128 v[6:9], v[4:5], off offset:240
	ds_load_b128 v[0:3], v40 offset:58000
	s_wait_loadcnt_dscnt 0x0
	v_mul_f64_e32 v[4:5], v[2:3], v[8:9]
	scratch_store_b128 off, v[6:9], off offset:1376 ; 16-byte Folded Spill
	v_fma_f64 v[52:53], v[0:1], v[6:7], -v[4:5]
	v_mul_f64_e32 v[0:1], v[0:1], v[8:9]
	v_add_f64_e64 v[4:5], v[26:27], -v[22:23]
	ds_load_b128 v[8:11], v40
	v_fma_f64 v[54:55], v[2:3], v[6:7], v[0:1]
	v_add_f64_e64 v[0:1], v[12:13], -v[16:17]
	v_add_f64_e64 v[2:3], v[24:25], -v[20:21]
	s_delay_alu instid0(VALU_DEP_1) | instskip(SKIP_1) | instid1(VALU_DEP_1)
	v_add_f64_e32 v[0:1], v[0:1], v[2:3]
	v_add_f64_e64 v[2:3], v[14:15], -v[18:19]
	v_add_f64_e32 v[2:3], v[2:3], v[4:5]
	v_add_f64_e32 v[4:5], v[16:17], v[20:21]
	s_wait_dscnt 0x0
	s_delay_alu instid0(VALU_DEP_1) | instskip(SKIP_1) | instid1(VALU_DEP_1)
	v_fma_f64 v[28:29], v[4:5], -0.5, v[8:9]
	v_add_f64_e32 v[4:5], v[18:19], v[22:23]
	v_fma_f64 v[30:31], v[4:5], -0.5, v[10:11]
	s_delay_alu instid0(VALU_DEP_3) | instskip(SKIP_1) | instid1(VALU_DEP_3)
	v_fma_f64 v[4:5], v[128:129], s[16:17], v[28:29]
	v_fma_f64 v[28:29], v[128:129], s[18:19], v[28:29]
	;; [unrolled: 1-line block ×4, first 2 shown]
	s_delay_alu instid0(VALU_DEP_4) | instskip(NEXT) | instid1(VALU_DEP_4)
	v_fma_f64 v[4:5], v[130:131], s[12:13], v[4:5]
	v_fma_f64 v[28:29], v[130:131], s[14:15], v[28:29]
	s_delay_alu instid0(VALU_DEP_4) | instskip(NEXT) | instid1(VALU_DEP_4)
	v_fma_f64 v[6:7], v[134:135], s[14:15], v[6:7]
	v_fma_f64 v[30:31], v[134:135], s[12:13], v[30:31]
	;; [unrolled: 3-line block ×3, first 2 shown]
	v_add_f64_e32 v[28:29], v[12:13], v[24:25]
	v_fma_f64 v[6:7], v[2:3], s[20:21], v[6:7]
	v_fma_f64 v[2:3], v[2:3], s[20:21], v[30:31]
	v_add_f64_e32 v[30:31], v[14:15], v[26:27]
	s_delay_alu instid0(VALU_DEP_4) | instskip(SKIP_2) | instid1(VALU_DEP_4)
	v_fma_f64 v[28:29], v[28:29], -0.5, v[8:9]
	v_add_f64_e32 v[8:9], v[8:9], v[12:13]
	v_add_f64_e64 v[12:13], v[16:17], -v[12:13]
	v_fma_f64 v[30:31], v[30:31], -0.5, v[10:11]
	v_add_f64_e32 v[10:11], v[10:11], v[14:15]
	v_add_f64_e64 v[14:15], v[18:19], -v[14:15]
	v_add_f64_e32 v[8:9], v[8:9], v[16:17]
	v_add_f64_e64 v[16:17], v[20:21], -v[24:25]
	s_delay_alu instid0(VALU_DEP_4) | instskip(SKIP_1) | instid1(VALU_DEP_4)
	v_add_f64_e32 v[10:11], v[10:11], v[18:19]
	v_add_f64_e64 v[18:19], v[22:23], -v[26:27]
	v_add_f64_e32 v[8:9], v[8:9], v[20:21]
	v_fma_f64 v[20:21], v[130:131], s[18:19], v[28:29]
	v_add_f64_e32 v[12:13], v[12:13], v[16:17]
	v_add_f64_e32 v[10:11], v[10:11], v[22:23]
	v_fma_f64 v[22:23], v[130:131], s[16:17], v[28:29]
	v_add_f64_e32 v[8:9], v[8:9], v[24:25]
	v_fma_f64 v[24:25], v[134:135], s[16:17], v[30:31]
	;; [unrolled: 2-line block ×4, first 2 shown]
	v_fma_f64 v[20:21], v[128:129], s[14:15], v[22:23]
	v_fma_f64 v[18:19], v[132:133], s[14:15], v[24:25]
	v_add_f64_e64 v[24:25], v[126:127], -v[122:123]
	v_fma_f64 v[16:17], v[12:13], s[20:21], v[16:17]
	ds_load_b128 v[28:31], v40 offset:2000
	v_add_f64_e64 v[134:135], v[38:39], -v[122:123]
	v_fma_f64 v[22:23], v[132:133], s[12:13], v[26:27]
	v_fma_f64 v[12:13], v[12:13], s[20:21], v[20:21]
	v_fma_f64 v[18:19], v[14:15], s[20:21], v[18:19]
	v_add_f64_e64 v[20:21], v[32:33], -v[36:37]
	v_add_f64_e64 v[132:133], v[34:35], -v[126:127]
	v_fma_f64 v[14:15], v[14:15], s[20:21], v[22:23]
	v_add_f64_e64 v[22:23], v[124:125], -v[120:121]
	s_delay_alu instid0(VALU_DEP_1) | instskip(SKIP_1) | instid1(VALU_DEP_1)
	v_add_f64_e32 v[20:21], v[20:21], v[22:23]
	v_add_f64_e64 v[22:23], v[34:35], -v[38:39]
	v_add_f64_e32 v[22:23], v[22:23], v[24:25]
	v_add_f64_e32 v[24:25], v[36:37], v[120:121]
	s_wait_dscnt 0x0
	s_delay_alu instid0(VALU_DEP_1) | instskip(SKIP_1) | instid1(VALU_DEP_1)
	v_fma_f64 v[128:129], v[24:25], -0.5, v[28:29]
	v_add_f64_e32 v[24:25], v[38:39], v[122:123]
	v_fma_f64 v[130:131], v[24:25], -0.5, v[30:31]
	s_delay_alu instid0(VALU_DEP_3) | instskip(SKIP_1) | instid1(VALU_DEP_3)
	v_fma_f64 v[24:25], v[132:133], s[16:17], v[128:129]
	v_fma_f64 v[128:129], v[132:133], s[18:19], v[128:129]
	;; [unrolled: 1-line block ×4, first 2 shown]
	s_delay_alu instid0(VALU_DEP_4) | instskip(NEXT) | instid1(VALU_DEP_4)
	v_fma_f64 v[24:25], v[134:135], s[12:13], v[24:25]
	v_fma_f64 v[128:129], v[134:135], s[14:15], v[128:129]
	s_delay_alu instid0(VALU_DEP_4) | instskip(NEXT) | instid1(VALU_DEP_4)
	v_fma_f64 v[26:27], v[138:139], s[14:15], v[26:27]
	v_fma_f64 v[130:131], v[138:139], s[12:13], v[130:131]
	;; [unrolled: 3-line block ×3, first 2 shown]
	v_add_f64_e32 v[128:129], v[32:33], v[124:125]
	v_fma_f64 v[26:27], v[22:23], s[20:21], v[26:27]
	v_fma_f64 v[22:23], v[22:23], s[20:21], v[130:131]
	v_add_f64_e32 v[130:131], v[34:35], v[126:127]
	s_delay_alu instid0(VALU_DEP_4) | instskip(SKIP_2) | instid1(VALU_DEP_4)
	v_fma_f64 v[128:129], v[128:129], -0.5, v[28:29]
	v_add_f64_e32 v[28:29], v[28:29], v[32:33]
	v_add_f64_e64 v[32:33], v[36:37], -v[32:33]
	v_fma_f64 v[130:131], v[130:131], -0.5, v[30:31]
	v_add_f64_e32 v[30:31], v[30:31], v[34:35]
	v_add_f64_e64 v[34:35], v[38:39], -v[34:35]
	v_add_f64_e32 v[28:29], v[28:29], v[36:37]
	v_add_f64_e64 v[36:37], v[120:121], -v[124:125]
	s_delay_alu instid0(VALU_DEP_4) | instskip(SKIP_1) | instid1(VALU_DEP_4)
	v_add_f64_e32 v[30:31], v[30:31], v[38:39]
	v_add_f64_e64 v[38:39], v[122:123], -v[126:127]
	v_add_f64_e32 v[28:29], v[28:29], v[120:121]
	v_fma_f64 v[120:121], v[134:135], s[18:19], v[128:129]
	v_add_f64_e32 v[32:33], v[32:33], v[36:37]
	v_add_f64_e32 v[30:31], v[30:31], v[122:123]
	v_fma_f64 v[122:123], v[134:135], s[16:17], v[128:129]
	v_add_f64_e32 v[28:29], v[28:29], v[124:125]
	v_fma_f64 v[124:125], v[138:139], s[16:17], v[130:131]
	v_add_f64_e32 v[34:35], v[34:35], v[38:39]
	v_fma_f64 v[36:37], v[132:133], s[12:13], v[120:121]
	v_add_f64_e32 v[30:31], v[30:31], v[126:127]
	v_fma_f64 v[126:127], v[138:139], s[18:19], v[130:131]
	v_fma_f64 v[120:121], v[132:133], s[14:15], v[122:123]
	v_fma_f64 v[38:39], v[136:137], s[14:15], v[124:125]
	v_add_f64_e32 v[124:125], v[98:99], v[96:97]
	v_fma_f64 v[36:37], v[32:33], s[20:21], v[36:37]
	v_add_f64_e64 v[138:139], v[92:93], -v[94:95]
	v_fma_f64 v[122:123], v[136:137], s[12:13], v[126:127]
	v_fma_f64 v[32:33], v[32:33], s[20:21], v[120:121]
	;; [unrolled: 1-line block ×3, first 2 shown]
	v_add_f64_e64 v[120:121], v[90:91], -v[98:99]
	v_add_f64_e64 v[136:137], v[88:89], -v[102:103]
	v_fma_f64 v[34:35], v[34:35], s[20:21], v[122:123]
	v_add_f64_e64 v[122:123], v[100:101], -v[96:97]
	s_delay_alu instid0(VALU_DEP_1) | instskip(SKIP_2) | instid1(VALU_DEP_1)
	v_add_f64_e32 v[128:129], v[120:121], v[122:123]
	v_add_f64_e64 v[120:121], v[88:89], -v[92:93]
	v_add_f64_e64 v[122:123], v[102:103], -v[94:95]
	v_add_f64_e32 v[130:131], v[120:121], v[122:123]
	ds_load_b128 v[120:123], v40 offset:4000
	s_wait_dscnt 0x0
	v_fma_f64 v[132:133], v[124:125], -0.5, v[120:121]
	v_add_f64_e32 v[124:125], v[92:93], v[94:95]
	s_delay_alu instid0(VALU_DEP_1) | instskip(NEXT) | instid1(VALU_DEP_3)
	v_fma_f64 v[134:135], v[124:125], -0.5, v[122:123]
	v_fma_f64 v[124:125], v[136:137], s[16:17], v[132:133]
	v_fma_f64 v[132:133], v[136:137], s[18:19], v[132:133]
	s_delay_alu instid0(VALU_DEP_3) | instskip(NEXT) | instid1(VALU_DEP_3)
	v_fma_f64 v[126:127], v[140:141], s[18:19], v[134:135]
	v_fma_f64 v[124:125], v[138:139], s[12:13], v[124:125]
	;; [unrolled: 1-line block ×3, first 2 shown]
	s_delay_alu instid0(VALU_DEP_4) | instskip(NEXT) | instid1(VALU_DEP_4)
	v_fma_f64 v[132:133], v[138:139], s[14:15], v[132:133]
	v_fma_f64 v[126:127], v[142:143], s[14:15], v[126:127]
	s_delay_alu instid0(VALU_DEP_4) | instskip(NEXT) | instid1(VALU_DEP_4)
	v_fma_f64 v[124:125], v[128:129], s[20:21], v[124:125]
	v_fma_f64 v[134:135], v[142:143], s[12:13], v[134:135]
	s_delay_alu instid0(VALU_DEP_4) | instskip(SKIP_2) | instid1(VALU_DEP_4)
	v_fma_f64 v[128:129], v[128:129], s[20:21], v[132:133]
	v_add_f64_e32 v[132:133], v[90:91], v[100:101]
	v_fma_f64 v[126:127], v[130:131], s[20:21], v[126:127]
	v_fma_f64 v[130:131], v[130:131], s[20:21], v[134:135]
	v_add_f64_e32 v[134:135], v[88:89], v[102:103]
	s_delay_alu instid0(VALU_DEP_4) | instskip(SKIP_1) | instid1(VALU_DEP_3)
	v_fma_f64 v[132:133], v[132:133], -0.5, v[120:121]
	v_add_f64_e32 v[120:121], v[120:121], v[90:91]
	v_fma_f64 v[134:135], v[134:135], -0.5, v[122:123]
	v_add_f64_e32 v[122:123], v[122:123], v[88:89]
	s_delay_alu instid0(VALU_DEP_3) | instskip(NEXT) | instid1(VALU_DEP_3)
	v_add_f64_e32 v[90:91], v[120:121], v[98:99]
	v_fma_f64 v[120:121], v[142:143], s[18:19], v[134:135]
	s_delay_alu instid0(VALU_DEP_3) | instskip(SKIP_1) | instid1(VALU_DEP_4)
	v_add_f64_e32 v[98:99], v[122:123], v[92:93]
	v_add_f64_e64 v[92:93], v[92:93], -v[88:89]
	v_add_f64_e32 v[88:89], v[90:91], v[96:97]
	v_add_f64_e64 v[96:97], v[96:97], -v[100:101]
	s_delay_alu instid0(VALU_DEP_4) | instskip(SKIP_1) | instid1(VALU_DEP_4)
	v_add_f64_e32 v[90:91], v[98:99], v[94:95]
	v_add_f64_e64 v[94:95], v[94:95], -v[102:103]
	v_add_f64_e32 v[88:89], v[88:89], v[100:101]
	v_fma_f64 v[98:99], v[138:139], s[18:19], v[132:133]
	v_fma_f64 v[100:101], v[138:139], s[16:17], v[132:133]
	v_add_f64_e32 v[96:97], v[144:145], v[96:97]
	v_add_f64_e64 v[144:145], v[74:75], -v[84:85]
	v_add_f64_e32 v[90:91], v[90:91], v[102:103]
	v_fma_f64 v[102:103], v[142:143], s[16:17], v[134:135]
	v_add_f64_e32 v[122:123], v[92:93], v[94:95]
	v_fma_f64 v[92:93], v[136:137], s[12:13], v[98:99]
	v_fma_f64 v[98:99], v[136:137], s[14:15], v[100:101]
	;; [unrolled: 1-line block ×3, first 2 shown]
	v_add_f64_e32 v[120:121], v[80:81], v[82:83]
	v_add_f64_e64 v[142:143], v[76:77], -v[78:79]
	v_fma_f64 v[94:95], v[140:141], s[14:15], v[102:103]
	v_add_f64_e64 v[102:103], v[84:85], -v[82:83]
	v_fma_f64 v[92:93], v[96:97], s[20:21], v[92:93]
	v_fma_f64 v[96:97], v[96:97], s[20:21], v[98:99]
	;; [unrolled: 1-line block ×3, first 2 shown]
	v_add_f64_e64 v[100:101], v[74:75], -v[80:81]
	v_add_f64_e64 v[140:141], v[72:73], -v[86:87]
	v_fma_f64 v[94:95], v[122:123], s[20:21], v[94:95]
	s_delay_alu instid0(VALU_DEP_3) | instskip(SKIP_2) | instid1(VALU_DEP_1)
	v_add_f64_e32 v[132:133], v[100:101], v[102:103]
	v_add_f64_e64 v[100:101], v[72:73], -v[76:77]
	v_add_f64_e64 v[102:103], v[86:87], -v[78:79]
	v_add_f64_e32 v[134:135], v[100:101], v[102:103]
	ds_load_b128 v[100:103], v40 offset:6000
	s_wait_dscnt 0x0
	v_fma_f64 v[136:137], v[120:121], -0.5, v[100:101]
	v_add_f64_e32 v[120:121], v[76:77], v[78:79]
	s_delay_alu instid0(VALU_DEP_1) | instskip(NEXT) | instid1(VALU_DEP_3)
	v_fma_f64 v[138:139], v[120:121], -0.5, v[102:103]
	v_fma_f64 v[120:121], v[140:141], s[16:17], v[136:137]
	v_fma_f64 v[136:137], v[140:141], s[18:19], v[136:137]
	s_delay_alu instid0(VALU_DEP_3) | instskip(NEXT) | instid1(VALU_DEP_3)
	v_fma_f64 v[122:123], v[144:145], s[18:19], v[138:139]
	v_fma_f64 v[120:121], v[142:143], s[12:13], v[120:121]
	;; [unrolled: 1-line block ×3, first 2 shown]
	s_delay_alu instid0(VALU_DEP_4) | instskip(NEXT) | instid1(VALU_DEP_4)
	v_fma_f64 v[136:137], v[142:143], s[14:15], v[136:137]
	v_fma_f64 v[122:123], v[146:147], s[14:15], v[122:123]
	s_delay_alu instid0(VALU_DEP_4) | instskip(NEXT) | instid1(VALU_DEP_4)
	v_fma_f64 v[120:121], v[132:133], s[20:21], v[120:121]
	v_fma_f64 v[138:139], v[146:147], s[12:13], v[138:139]
	s_delay_alu instid0(VALU_DEP_4) | instskip(SKIP_2) | instid1(VALU_DEP_4)
	v_fma_f64 v[132:133], v[132:133], s[20:21], v[136:137]
	v_add_f64_e32 v[136:137], v[74:75], v[84:85]
	v_fma_f64 v[122:123], v[134:135], s[20:21], v[122:123]
	v_fma_f64 v[134:135], v[134:135], s[20:21], v[138:139]
	v_add_f64_e32 v[138:139], v[72:73], v[86:87]
	s_delay_alu instid0(VALU_DEP_4) | instskip(SKIP_1) | instid1(VALU_DEP_3)
	v_fma_f64 v[136:137], v[136:137], -0.5, v[100:101]
	v_add_f64_e32 v[100:101], v[100:101], v[74:75]
	v_fma_f64 v[138:139], v[138:139], -0.5, v[102:103]
	v_add_f64_e32 v[102:103], v[102:103], v[72:73]
	s_delay_alu instid0(VALU_DEP_3) | instskip(NEXT) | instid1(VALU_DEP_3)
	v_add_f64_e32 v[74:75], v[100:101], v[80:81]
	v_fma_f64 v[100:101], v[146:147], s[18:19], v[138:139]
	s_delay_alu instid0(VALU_DEP_3) | instskip(SKIP_1) | instid1(VALU_DEP_4)
	v_add_f64_e32 v[80:81], v[102:103], v[76:77]
	v_add_f64_e64 v[76:77], v[76:77], -v[72:73]
	v_add_f64_e32 v[72:73], v[74:75], v[82:83]
	s_delay_alu instid0(VALU_DEP_3) | instskip(SKIP_1) | instid1(VALU_DEP_3)
	v_add_f64_e32 v[74:75], v[80:81], v[78:79]
	v_add_f64_e64 v[80:81], v[82:83], -v[84:85]
	v_add_f64_e32 v[72:73], v[72:73], v[84:85]
	v_add_f64_e64 v[78:79], v[78:79], -v[86:87]
	v_fma_f64 v[82:83], v[142:143], s[18:19], v[136:137]
	v_fma_f64 v[84:85], v[142:143], s[16:17], v[136:137]
	v_add_f64_e32 v[74:75], v[74:75], v[86:87]
	v_fma_f64 v[86:87], v[146:147], s[16:17], v[138:139]
	v_add_f64_e32 v[80:81], v[148:149], v[80:81]
	v_add_f64_e32 v[102:103], v[76:77], v[78:79]
	v_fma_f64 v[76:77], v[140:141], s[12:13], v[82:83]
	v_fma_f64 v[82:83], v[140:141], s[14:15], v[84:85]
	;; [unrolled: 1-line block ×3, first 2 shown]
	v_add_f64_e32 v[100:101], v[66:67], v[64:65]
	v_add_f64_e64 v[146:147], v[60:61], -v[62:63]
	v_add_f64_e64 v[148:149], v[58:59], -v[68:69]
	v_fma_f64 v[78:79], v[144:145], s[14:15], v[86:87]
	v_add_f64_e64 v[86:87], v[68:69], -v[64:65]
	v_add_f64_e64 v[144:145], v[56:57], -v[70:71]
	v_fma_f64 v[76:77], v[80:81], s[20:21], v[76:77]
	v_fma_f64 v[80:81], v[80:81], s[20:21], v[82:83]
	;; [unrolled: 1-line block ×3, first 2 shown]
	v_add_f64_e64 v[84:85], v[58:59], -v[66:67]
	v_fma_f64 v[78:79], v[102:103], s[20:21], v[78:79]
	s_delay_alu instid0(VALU_DEP_2) | instskip(SKIP_2) | instid1(VALU_DEP_1)
	v_add_f64_e32 v[136:137], v[84:85], v[86:87]
	v_add_f64_e64 v[84:85], v[56:57], -v[60:61]
	v_add_f64_e64 v[86:87], v[70:71], -v[62:63]
	v_add_f64_e32 v[138:139], v[84:85], v[86:87]
	ds_load_b128 v[84:87], v40 offset:8000
	s_wait_dscnt 0x0
	v_fma_f64 v[140:141], v[100:101], -0.5, v[84:85]
	v_add_f64_e32 v[100:101], v[60:61], v[62:63]
	s_delay_alu instid0(VALU_DEP_1) | instskip(NEXT) | instid1(VALU_DEP_3)
	v_fma_f64 v[142:143], v[100:101], -0.5, v[86:87]
	v_fma_f64 v[100:101], v[144:145], s[16:17], v[140:141]
	v_fma_f64 v[140:141], v[144:145], s[18:19], v[140:141]
	s_delay_alu instid0(VALU_DEP_3) | instskip(NEXT) | instid1(VALU_DEP_3)
	v_fma_f64 v[102:103], v[148:149], s[18:19], v[142:143]
	v_fma_f64 v[100:101], v[146:147], s[12:13], v[100:101]
	v_fma_f64 v[142:143], v[148:149], s[16:17], v[142:143]
	s_delay_alu instid0(VALU_DEP_4) | instskip(NEXT) | instid1(VALU_DEP_4)
	v_fma_f64 v[140:141], v[146:147], s[14:15], v[140:141]
	v_fma_f64 v[102:103], v[155:156], s[14:15], v[102:103]
	s_delay_alu instid0(VALU_DEP_4) | instskip(NEXT) | instid1(VALU_DEP_4)
	v_fma_f64 v[100:101], v[136:137], s[20:21], v[100:101]
	v_fma_f64 v[142:143], v[155:156], s[12:13], v[142:143]
	s_delay_alu instid0(VALU_DEP_4) | instskip(SKIP_2) | instid1(VALU_DEP_4)
	v_fma_f64 v[136:137], v[136:137], s[20:21], v[140:141]
	v_add_f64_e32 v[140:141], v[58:59], v[68:69]
	v_fma_f64 v[102:103], v[138:139], s[20:21], v[102:103]
	v_fma_f64 v[138:139], v[138:139], s[20:21], v[142:143]
	v_add_f64_e32 v[142:143], v[56:57], v[70:71]
	s_delay_alu instid0(VALU_DEP_4) | instskip(SKIP_1) | instid1(VALU_DEP_3)
	v_fma_f64 v[140:141], v[140:141], -0.5, v[84:85]
	v_add_f64_e32 v[84:85], v[84:85], v[58:59]
	v_fma_f64 v[142:143], v[142:143], -0.5, v[86:87]
	v_add_f64_e32 v[86:87], v[86:87], v[56:57]
	s_delay_alu instid0(VALU_DEP_3) | instskip(NEXT) | instid1(VALU_DEP_3)
	v_add_f64_e32 v[58:59], v[84:85], v[66:67]
	v_fma_f64 v[84:85], v[155:156], s[18:19], v[142:143]
	s_delay_alu instid0(VALU_DEP_3) | instskip(SKIP_1) | instid1(VALU_DEP_4)
	v_add_f64_e32 v[66:67], v[86:87], v[60:61]
	v_add_f64_e64 v[60:61], v[60:61], -v[56:57]
	v_add_f64_e32 v[56:57], v[58:59], v[64:65]
	v_add_f64_e64 v[64:65], v[64:65], -v[68:69]
	s_delay_alu instid0(VALU_DEP_4) | instskip(SKIP_1) | instid1(VALU_DEP_4)
	v_add_f64_e32 v[58:59], v[66:67], v[62:63]
	v_add_f64_e64 v[62:63], v[62:63], -v[70:71]
	v_add_f64_e32 v[56:57], v[56:57], v[68:69]
	v_fma_f64 v[66:67], v[146:147], s[18:19], v[140:141]
	v_fma_f64 v[68:69], v[146:147], s[16:17], v[140:141]
	v_add_f64_e32 v[64:65], v[157:158], v[64:65]
	v_add_f64_e64 v[157:158], v[42:43], -v[52:53]
	v_add_f64_e32 v[58:59], v[58:59], v[70:71]
	v_fma_f64 v[70:71], v[155:156], s[16:17], v[142:143]
	v_add_f64_e32 v[86:87], v[60:61], v[62:63]
	v_fma_f64 v[60:61], v[144:145], s[12:13], v[66:67]
	v_fma_f64 v[66:67], v[144:145], s[14:15], v[68:69]
	;; [unrolled: 1-line block ×3, first 2 shown]
	v_add_f64_e32 v[84:85], v[50:51], v[48:49]
	v_add_f64_e64 v[155:156], v[44:45], -v[46:47]
	v_fma_f64 v[62:63], v[148:149], s[14:15], v[70:71]
	v_add_f64_e64 v[70:71], v[52:53], -v[48:49]
	v_fma_f64 v[60:61], v[64:65], s[20:21], v[60:61]
	v_fma_f64 v[64:65], v[64:65], s[20:21], v[66:67]
	;; [unrolled: 1-line block ×3, first 2 shown]
	v_add_f64_e64 v[68:69], v[42:43], -v[50:51]
	v_add_f64_e64 v[148:149], v[104:105], -v[54:55]
	v_fma_f64 v[62:63], v[86:87], s[20:21], v[62:63]
	s_delay_alu instid0(VALU_DEP_3) | instskip(SKIP_2) | instid1(VALU_DEP_1)
	v_add_f64_e32 v[140:141], v[68:69], v[70:71]
	v_add_f64_e64 v[68:69], v[104:105], -v[44:45]
	v_add_f64_e64 v[70:71], v[54:55], -v[46:47]
	v_add_f64_e32 v[142:143], v[68:69], v[70:71]
	ds_load_b128 v[68:71], v40 offset:10000
	s_wait_dscnt 0x0
	v_fma_f64 v[144:145], v[84:85], -0.5, v[68:69]
	v_add_f64_e32 v[84:85], v[44:45], v[46:47]
	s_delay_alu instid0(VALU_DEP_1) | instskip(NEXT) | instid1(VALU_DEP_3)
	v_fma_f64 v[146:147], v[84:85], -0.5, v[70:71]
	v_fma_f64 v[84:85], v[148:149], s[16:17], v[144:145]
	v_fma_f64 v[144:145], v[148:149], s[18:19], v[144:145]
	s_delay_alu instid0(VALU_DEP_3) | instskip(SKIP_1) | instid1(VALU_DEP_4)
	v_fma_f64 v[86:87], v[157:158], s[18:19], v[146:147]
	v_fma_f64 v[146:147], v[157:158], s[16:17], v[146:147]
	;; [unrolled: 1-line block ×3, first 2 shown]
	s_delay_alu instid0(VALU_DEP_4) | instskip(NEXT) | instid1(VALU_DEP_4)
	v_fma_f64 v[144:145], v[155:156], s[14:15], v[144:145]
	v_fma_f64 v[86:87], v[159:160], s[14:15], v[86:87]
	s_delay_alu instid0(VALU_DEP_4) | instskip(NEXT) | instid1(VALU_DEP_4)
	v_fma_f64 v[146:147], v[159:160], s[12:13], v[146:147]
	v_fma_f64 v[84:85], v[140:141], s[20:21], v[84:85]
	s_delay_alu instid0(VALU_DEP_4) | instskip(SKIP_4) | instid1(VALU_DEP_4)
	v_fma_f64 v[140:141], v[140:141], s[20:21], v[144:145]
	v_add_f64_e32 v[144:145], v[42:43], v[52:53]
	v_fma_f64 v[86:87], v[142:143], s[20:21], v[86:87]
	v_fma_f64 v[142:143], v[142:143], s[20:21], v[146:147]
	v_add_f64_e32 v[146:147], v[104:105], v[54:55]
	v_fma_f64 v[144:145], v[144:145], -0.5, v[68:69]
	v_add_f64_e32 v[68:69], v[68:69], v[42:43]
	s_delay_alu instid0(VALU_DEP_3) | instskip(SKIP_1) | instid1(VALU_DEP_3)
	v_fma_f64 v[146:147], v[146:147], -0.5, v[70:71]
	v_add_f64_e32 v[70:71], v[70:71], v[104:105]
	v_add_f64_e32 v[42:43], v[68:69], v[50:51]
	v_add_f64_e64 v[68:69], v[44:45], -v[104:105]
	s_delay_alu instid0(VALU_DEP_3) | instskip(SKIP_1) | instid1(VALU_DEP_4)
	v_add_f64_e32 v[50:51], v[70:71], v[44:45]
	v_fma_f64 v[70:71], v[159:160], s[18:19], v[146:147]
	v_add_f64_e32 v[42:43], v[42:43], v[48:49]
	v_add_f64_e64 v[48:49], v[48:49], -v[52:53]
	s_delay_alu instid0(VALU_DEP_4)
	v_add_f64_e32 v[44:45], v[50:51], v[46:47]
	v_add_f64_e64 v[46:47], v[46:47], -v[54:55]
	v_fma_f64 v[50:51], v[155:156], s[18:19], v[144:145]
	v_add_f64_e32 v[42:43], v[42:43], v[52:53]
	v_fma_f64 v[52:53], v[155:156], s[16:17], v[144:145]
	v_add_f64_e32 v[104:105], v[161:162], v[48:49]
	v_add_f64_e32 v[44:45], v[44:45], v[54:55]
	v_fma_f64 v[54:55], v[159:160], s[16:17], v[146:147]
	v_add_f64_e32 v[68:69], v[68:69], v[46:47]
	v_fma_f64 v[46:47], v[148:149], s[12:13], v[50:51]
	v_fma_f64 v[50:51], v[148:149], s[14:15], v[52:53]
	;; [unrolled: 1-line block ×4, first 2 shown]
	v_and_b32_e32 v54, 0xffff, v106
	v_fma_f64 v[46:47], v[104:105], s[20:21], v[46:47]
	v_fma_f64 v[50:51], v[104:105], s[20:21], v[50:51]
	;; [unrolled: 1-line block ×3, first 2 shown]
	s_delay_alu instid0(VALU_DEP_4) | instskip(NEXT) | instid1(VALU_DEP_1)
	v_mul_u32_u24_e32 v54, 0x4b, v54
	v_add_lshl_u32 v54, v54, v107, 4
	scratch_store_b32 off, v54, off offset:1552 ; 4-byte Folded Spill
	global_wb scope:SCOPE_SE
	s_wait_storecnt 0x0
	s_barrier_signal -1
	s_barrier_wait -1
	global_inv scope:SCOPE_SE
	ds_store_b128 v54, v[8:11]
	ds_store_b128 v54, v[4:7] offset:240
	ds_store_b128 v54, v[16:19] offset:480
	;; [unrolled: 1-line block ×4, first 2 shown]
	v_and_b32_e32 v0, 0xffff, v108
	s_delay_alu instid0(VALU_DEP_1) | instskip(NEXT) | instid1(VALU_DEP_1)
	v_mul_u32_u24_e32 v0, 0x4b, v0
	v_add_lshl_u32 v0, v0, v109, 4
	scratch_store_b32 off, v0, off offset:1484 ; 4-byte Folded Spill
	ds_store_b128 v0, v[28:31]
	ds_store_b128 v0, v[24:27] offset:240
	ds_store_b128 v0, v[36:39] offset:480
	;; [unrolled: 1-line block ×4, first 2 shown]
	v_mad_u16 v0, 0x4b, v112, v116
	v_fma_f64 v[48:49], v[68:69], s[20:21], v[48:49]
	s_delay_alu instid0(VALU_DEP_2) | instskip(NEXT) | instid1(VALU_DEP_1)
	v_and_b32_e32 v0, 0xffff, v0
	v_lshlrev_b32_e32 v0, 4, v0
	scratch_store_b32 off, v0, off offset:1480 ; 4-byte Folded Spill
	ds_store_b128 v0, v[88:91]
	ds_store_b128 v0, v[124:127] offset:240
	ds_store_b128 v0, v[92:95] offset:480
	ds_store_b128 v0, v[96:99] offset:720
	ds_store_b128 v0, v[128:131] offset:960
	v_mad_u16 v0, 0x4b, v115, v117
	s_delay_alu instid0(VALU_DEP_1) | instskip(NEXT) | instid1(VALU_DEP_1)
	v_and_b32_e32 v0, 0xffff, v0
	v_lshlrev_b32_e32 v0, 4, v0
	scratch_store_b32 off, v0, off offset:1460 ; 4-byte Folded Spill
	ds_store_b128 v0, v[72:75]
	ds_store_b128 v0, v[120:123] offset:240
	ds_store_b128 v0, v[76:79] offset:480
	ds_store_b128 v0, v[80:83] offset:720
	ds_store_b128 v0, v[132:135] offset:960
	v_mad_u16 v0, 0x4b, v114, v118
	s_delay_alu instid0(VALU_DEP_1) | instskip(NEXT) | instid1(VALU_DEP_1)
	;; [unrolled: 10-line block ×3, first 2 shown]
	v_and_b32_e32 v0, 0xffff, v0
	v_lshlrev_b32_e32 v0, 4, v0
	scratch_store_b32 off, v0, off offset:1204 ; 4-byte Folded Spill
	ds_store_b128 v0, v[42:45]
	ds_store_b128 v0, v[84:87] offset:240
	ds_store_b128 v0, v[46:49] offset:480
	;; [unrolled: 1-line block ×4, first 2 shown]
	v_add_nc_u32_e32 v0, 0xffffffb5, v170
	scratch_store_b32 off, v171, off offset:488 ; 4-byte Folded Spill
	global_wb scope:SCOPE_SE
	s_wait_storecnt_dscnt 0x0
	s_barrier_signal -1
	s_barrier_wait -1
	v_cndmask_b32_e32 v150, v0, v170, vcc_lo
	global_inv scope:SCOPE_SE
	v_mul_i32_i24_e32 v0, 0x90, v150
	v_mul_hi_i32_i24_e32 v1, 0x90, v150
	s_delay_alu instid0(VALU_DEP_2) | instskip(SKIP_1) | instid1(VALU_DEP_2)
	v_add_co_u32 v4, vcc_lo, s10, v0
	s_wait_alu 0xfffd
	v_add_co_ci_u32_e32 v5, vcc_lo, s11, v1, vcc_lo
	ds_load_b128 v[0:3], v40 offset:6000
	v_cmp_lt_u16_e32 vcc_lo, 0x4a, v41
	global_load_b128 v[8:11], v[4:5], off offset:1152
	s_wait_alu 0xfffd
	v_cndmask_b32_e64 v41, 0, 0x2ee, vcc_lo
	s_delay_alu instid0(VALU_DEP_1)
	v_add_lshl_u32 v172, v150, v41, 4
	s_wait_loadcnt_dscnt 0x0
	v_mul_f64_e32 v[6:7], v[2:3], v[10:11]
	scratch_store_b128 off, v[8:11], off offset:1256 ; 16-byte Folded Spill
	v_fma_f64 v[16:17], v[0:1], v[8:9], -v[6:7]
	v_mul_f64_e32 v[0:1], v[0:1], v[10:11]
	s_delay_alu instid0(VALU_DEP_1)
	v_fma_f64 v[18:19], v[2:3], v[8:9], v[0:1]
	global_load_b128 v[8:11], v[4:5], off offset:1168
	ds_load_b128 v[0:3], v40 offset:12000
	s_wait_loadcnt_dscnt 0x0
	v_mul_f64_e32 v[6:7], v[2:3], v[10:11]
	scratch_store_b128 off, v[8:11], off offset:1276 ; 16-byte Folded Spill
	v_fma_f64 v[20:21], v[0:1], v[8:9], -v[6:7]
	v_mul_f64_e32 v[0:1], v[0:1], v[10:11]
	s_delay_alu instid0(VALU_DEP_1)
	v_fma_f64 v[22:23], v[2:3], v[8:9], v[0:1]
	global_load_b128 v[8:11], v[4:5], off offset:1184
	ds_load_b128 v[0:3], v40 offset:18000
	;; [unrolled: 9-line block ×5, first 2 shown]
	s_wait_loadcnt_dscnt 0x0
	v_mul_f64_e32 v[6:7], v[2:3], v[10:11]
	scratch_store_b128 off, v[8:11], off offset:1412 ; 16-byte Folded Spill
	v_fma_f64 v[52:53], v[0:1], v[8:9], -v[6:7]
	v_mul_f64_e32 v[0:1], v[0:1], v[10:11]
	s_delay_alu instid0(VALU_DEP_2) | instskip(NEXT) | instid1(VALU_DEP_2)
	v_add_f64_e64 v[234:235], v[28:29], -v[52:53]
	v_fma_f64 v[54:55], v[2:3], v[8:9], v[0:1]
	global_load_b128 v[8:11], v[4:5], off offset:1248
	ds_load_b128 v[0:3], v40 offset:42000
	v_add_f64_e64 v[230:231], v[30:31], -v[54:55]
	s_wait_loadcnt_dscnt 0x0
	v_mul_f64_e32 v[6:7], v[2:3], v[10:11]
	scratch_store_b128 off, v[8:11], off offset:1428 ; 16-byte Folded Spill
	v_fma_f64 v[58:59], v[0:1], v[8:9], -v[6:7]
	v_mul_f64_e32 v[0:1], v[0:1], v[10:11]
	s_delay_alu instid0(VALU_DEP_2) | instskip(NEXT) | instid1(VALU_DEP_2)
	v_add_f64_e64 v[222:223], v[46:47], -v[58:59]
	v_fma_f64 v[56:57], v[2:3], v[8:9], v[0:1]
	global_load_b128 v[8:11], v[4:5], off offset:1264
	ds_load_b128 v[0:3], v40 offset:48000
	v_add_f64_e64 v[226:227], v[44:45], -v[56:57]
	;; [unrolled: 11-line block ×3, first 2 shown]
	s_wait_loadcnt_dscnt 0x0
	v_mul_f64_e32 v[4:5], v[2:3], v[8:9]
	scratch_store_b128 off, v[6:9], off offset:1464 ; 16-byte Folded Spill
	v_fma_f64 v[94:95], v[0:1], v[6:7], -v[4:5]
	v_mul_f64_e32 v[0:1], v[0:1], v[8:9]
	s_delay_alu instid0(VALU_DEP_2) | instskip(NEXT) | instid1(VALU_DEP_2)
	v_add_f64_e64 v[220:221], v[26:27], -v[94:95]
	v_fma_f64 v[92:93], v[2:3], v[6:7], v[0:1]
	v_mul_lo_u16 v0, 0xdb, v111
	s_delay_alu instid0(VALU_DEP_1) | instskip(NEXT) | instid1(VALU_DEP_1)
	v_lshrrev_b16 v155, 14, v0
	v_mul_lo_u16 v0, 0x4b, v155
	s_delay_alu instid0(VALU_DEP_1) | instskip(NEXT) | instid1(VALU_DEP_1)
	v_sub_nc_u16 v0, v153, v0
	v_and_b32_e32 v156, 0xff, v0
	ds_load_b128 v[0:3], v40 offset:8000
	v_mad_co_u64_u32 v[4:5], null, 0x90, v156, s[10:11]
	s_clause 0x8
	global_load_b128 v[212:215], v[4:5], off offset:1152
	global_load_b128 v[208:211], v[4:5], off offset:1168
	global_load_b128 v[204:207], v[4:5], off offset:1184
	global_load_b128 v[200:203], v[4:5], off offset:1200
	global_load_b128 v[196:199], v[4:5], off offset:1216
	global_load_b128 v[192:195], v[4:5], off offset:1232
	global_load_b128 v[188:191], v[4:5], off offset:1248
	global_load_b128 v[184:187], v[4:5], off offset:1264
	global_load_b128 v[180:183], v[4:5], off offset:1280
	v_add_f64_e64 v[224:225], v[24:25], -v[92:93]
	s_wait_loadcnt_dscnt 0x800
	v_mul_f64_e32 v[6:7], v[2:3], v[214:215]
	s_delay_alu instid0(VALU_DEP_1) | instskip(SKIP_1) | instid1(VALU_DEP_1)
	v_fma_f64 v[32:33], v[0:1], v[212:213], -v[6:7]
	v_mul_f64_e32 v[0:1], v[0:1], v[214:215]
	v_fma_f64 v[34:35], v[2:3], v[212:213], v[0:1]
	ds_load_b128 v[0:3], v40 offset:14000
	s_wait_loadcnt_dscnt 0x700
	v_mul_f64_e32 v[6:7], v[2:3], v[210:211]
	s_delay_alu instid0(VALU_DEP_1) | instskip(SKIP_1) | instid1(VALU_DEP_1)
	v_fma_f64 v[36:37], v[0:1], v[208:209], -v[6:7]
	v_mul_f64_e32 v[0:1], v[0:1], v[210:211]
	v_fma_f64 v[38:39], v[2:3], v[208:209], v[0:1]
	ds_load_b128 v[0:3], v40 offset:20000
	;; [unrolled: 7-line block ×8, first 2 shown]
	s_wait_loadcnt_dscnt 0x0
	v_mul_f64_e32 v[4:5], v[2:3], v[182:183]
	s_delay_alu instid0(VALU_DEP_1) | instskip(SKIP_1) | instid1(VALU_DEP_1)
	v_fma_f64 v[106:107], v[0:1], v[180:181], -v[4:5]
	v_mul_f64_e32 v[0:1], v[0:1], v[182:183]
	v_fma_f64 v[104:105], v[2:3], v[180:181], v[0:1]
	v_mul_u32_u24_e32 v0, 0xb4e9, v110
	s_delay_alu instid0(VALU_DEP_1) | instskip(NEXT) | instid1(VALU_DEP_1)
	v_lshrrev_b32_e32 v0, 16, v0
	v_sub_nc_u16 v1, v154, v0
	s_delay_alu instid0(VALU_DEP_1) | instskip(NEXT) | instid1(VALU_DEP_1)
	v_lshrrev_b16 v1, 1, v1
	v_add_nc_u16 v0, v1, v0
	s_delay_alu instid0(VALU_DEP_1) | instskip(NEXT) | instid1(VALU_DEP_1)
	v_lshrrev_b16 v157, 6, v0
	v_mul_lo_u16 v0, 0x4b, v157
	s_delay_alu instid0(VALU_DEP_1) | instskip(NEXT) | instid1(VALU_DEP_1)
	v_sub_nc_u16 v158, v154, v0
	v_mul_lo_u16 v0, 0x90, v158
	s_delay_alu instid0(VALU_DEP_1) | instskip(NEXT) | instid1(VALU_DEP_1)
	v_and_b32_e32 v0, 0xffff, v0
	v_add_co_u32 v4, s26, s10, v0
	s_wait_alu 0xf1ff
	v_add_co_ci_u32_e64 v5, null, s11, 0, s26
	ds_load_b128 v[0:3], v40 offset:10000
	s_mov_b32 s26, 0x9b97f4a8
	s_mov_b32 s27, 0x3fe9e377
	global_load_b128 v[8:11], v[4:5], off offset:1152
	s_wait_alu 0xfffe
	s_mov_b32 s30, s26
	s_wait_loadcnt_dscnt 0x0
	v_mul_f64_e32 v[6:7], v[2:3], v[10:11]
	scratch_store_b128 off, v[8:11], off offset:1488 ; 16-byte Folded Spill
	v_fma_f64 v[48:49], v[0:1], v[8:9], -v[6:7]
	v_mul_f64_e32 v[0:1], v[0:1], v[10:11]
	s_delay_alu instid0(VALU_DEP_1)
	v_fma_f64 v[50:51], v[2:3], v[8:9], v[0:1]
	global_load_b128 v[8:11], v[4:5], off offset:1168
	ds_load_b128 v[0:3], v40 offset:16000
	s_wait_loadcnt_dscnt 0x0
	v_mul_f64_e32 v[6:7], v[2:3], v[10:11]
	scratch_store_b128 off, v[8:11], off offset:1504 ; 16-byte Folded Spill
	v_fma_f64 v[64:65], v[0:1], v[8:9], -v[6:7]
	v_mul_f64_e32 v[0:1], v[0:1], v[10:11]
	s_delay_alu instid0(VALU_DEP_1)
	v_fma_f64 v[66:67], v[2:3], v[8:9], v[0:1]
	global_load_b128 v[8:11], v[4:5], off offset:1184
	ds_load_b128 v[0:3], v40 offset:22000
	;; [unrolled: 9-line block ×3, first 2 shown]
	v_add_f64_e32 v[14:15], v[50:51], v[68:69]
	s_wait_loadcnt_dscnt 0x0
	v_mul_f64_e32 v[6:7], v[2:3], v[10:11]
	scratch_store_b128 off, v[8:11], off offset:1536 ; 16-byte Folded Spill
	v_fma_f64 v[76:77], v[0:1], v[8:9], -v[6:7]
	v_mul_f64_e32 v[0:1], v[0:1], v[10:11]
	s_delay_alu instid0(VALU_DEP_1)
	v_fma_f64 v[78:79], v[2:3], v[8:9], v[0:1]
	global_load_b128 v[8:11], v[4:5], off offset:1216
	ds_load_b128 v[0:3], v40 offset:34000
	s_wait_loadcnt_dscnt 0x0
	v_mul_f64_e32 v[6:7], v[2:3], v[10:11]
	scratch_store_b128 off, v[8:11], off offset:1556 ; 16-byte Folded Spill
	v_fma_f64 v[102:103], v[0:1], v[8:9], -v[6:7]
	v_mul_f64_e32 v[0:1], v[0:1], v[10:11]
	s_delay_alu instid0(VALU_DEP_1)
	v_fma_f64 v[100:101], v[2:3], v[8:9], v[0:1]
	global_load_b128 v[8:11], v[4:5], off offset:1232
	ds_load_b128 v[0:3], v40 offset:40000
	v_add_f64_e32 v[14:15], v[14:15], v[100:101]
	s_wait_loadcnt_dscnt 0x0
	v_mul_f64_e32 v[6:7], v[2:3], v[10:11]
	scratch_store_b128 off, v[8:11], off offset:1572 ; 16-byte Folded Spill
	v_fma_f64 v[108:109], v[0:1], v[8:9], -v[6:7]
	v_mul_f64_e32 v[0:1], v[0:1], v[10:11]
	s_delay_alu instid0(VALU_DEP_2) | instskip(NEXT) | instid1(VALU_DEP_2)
	v_add_f64_e32 v[12:13], v[76:77], v[108:109]
	v_fma_f64 v[110:111], v[2:3], v[8:9], v[0:1]
	global_load_b128 v[8:11], v[4:5], off offset:1248
	ds_load_b128 v[0:3], v40 offset:46000
	s_wait_loadcnt_dscnt 0x0
	v_mul_f64_e32 v[6:7], v[2:3], v[10:11]
	scratch_store_b128 off, v[8:11], off offset:1588 ; 16-byte Folded Spill
	v_fma_f64 v[114:115], v[0:1], v[8:9], -v[6:7]
	v_mul_f64_e32 v[0:1], v[0:1], v[10:11]
	s_delay_alu instid0(VALU_DEP_1)
	v_fma_f64 v[112:113], v[2:3], v[8:9], v[0:1]
	global_load_b128 v[8:11], v[4:5], off offset:1264
	ds_load_b128 v[0:3], v40 offset:52000
	v_add_f64_e32 v[14:15], v[14:15], v[112:113]
	s_wait_loadcnt_dscnt 0x0
	v_mul_f64_e32 v[6:7], v[2:3], v[10:11]
	scratch_store_b128 off, v[8:11], off offset:1604 ; 16-byte Folded Spill
	v_fma_f64 v[116:117], v[0:1], v[8:9], -v[6:7]
	v_mul_f64_e32 v[0:1], v[0:1], v[10:11]
	s_delay_alu instid0(VALU_DEP_1)
	v_fma_f64 v[118:119], v[2:3], v[8:9], v[0:1]
	global_load_b128 v[6:9], v[4:5], off offset:1280
	ds_load_b128 v[0:3], v40 offset:58000
	s_wait_loadcnt_dscnt 0x0
	v_mul_f64_e32 v[4:5], v[2:3], v[8:9]
	scratch_store_b128 off, v[6:9], off offset:1620 ; 16-byte Folded Spill
	v_fma_f64 v[122:123], v[0:1], v[6:7], -v[4:5]
	v_mul_f64_e32 v[0:1], v[0:1], v[8:9]
	v_add_f64_e32 v[4:5], v[28:29], v[52:53]
	s_delay_alu instid0(VALU_DEP_2)
	v_fma_f64 v[120:121], v[2:3], v[6:7], v[0:1]
	ds_load_b128 v[0:3], v40
	v_add_f64_e32 v[6:7], v[18:19], v[24:25]
	s_wait_dscnt 0x0
	v_fma_f64 v[124:125], v[4:5], -0.5, v[0:1]
	v_add_f64_e32 v[4:5], v[20:21], v[72:73]
	v_add_f64_e32 v[14:15], v[14:15], v[120:121]
	s_delay_alu instid0(VALU_DEP_4) | instskip(NEXT) | instid1(VALU_DEP_3)
	v_add_f64_e32 v[6:7], v[6:7], v[44:45]
	v_fma_f64 v[128:129], v[4:5], -0.5, v[0:1]
	v_add_f64_e32 v[4:5], v[30:31], v[54:55]
	v_add_f64_e32 v[0:1], v[0:1], v[20:21]
	s_delay_alu instid0(VALU_DEP_4) | instskip(NEXT) | instid1(VALU_DEP_3)
	v_add_f64_e32 v[6:7], v[6:7], v[56:57]
	v_fma_f64 v[126:127], v[4:5], -0.5, v[2:3]
	v_add_f64_e32 v[4:5], v[22:23], v[74:75]
	s_delay_alu instid0(VALU_DEP_4) | instskip(NEXT) | instid1(VALU_DEP_4)
	v_add_f64_e32 v[0:1], v[0:1], v[28:29]
	v_add_f64_e32 v[6:7], v[6:7], v[92:93]
	s_delay_alu instid0(VALU_DEP_3) | instskip(SKIP_3) | instid1(VALU_DEP_3)
	v_fma_f64 v[130:131], v[4:5], -0.5, v[2:3]
	v_add_f64_e32 v[4:5], v[16:17], v[26:27]
	v_add_f64_e32 v[2:3], v[2:3], v[22:23]
	;; [unrolled: 1-line block ×4, first 2 shown]
	s_delay_alu instid0(VALU_DEP_3) | instskip(NEXT) | instid1(VALU_DEP_3)
	v_add_f64_e32 v[2:3], v[2:3], v[30:31]
	v_add_f64_e32 v[0:1], v[0:1], v[72:73]
	s_delay_alu instid0(VALU_DEP_3) | instskip(NEXT) | instid1(VALU_DEP_3)
	v_add_f64_e32 v[4:5], v[4:5], v[58:59]
	v_add_f64_e32 v[2:3], v[2:3], v[54:55]
	s_delay_alu instid0(VALU_DEP_2) | instskip(NEXT) | instid1(VALU_DEP_2)
	v_add_f64_e32 v[4:5], v[4:5], v[94:95]
	v_add_f64_e32 v[2:3], v[2:3], v[74:75]
	s_delay_alu instid0(VALU_DEP_2) | instskip(SKIP_2) | instid1(VALU_DEP_4)
	v_add_f64_e32 v[159:160], v[0:1], v[4:5]
	v_add_f64_e64 v[163:164], v[0:1], -v[4:5]
	v_add_f64_e32 v[4:5], v[60:61], v[84:85]
	v_add_f64_e32 v[161:162], v[2:3], v[6:7]
	v_add_f64_e64 v[165:166], v[2:3], -v[6:7]
	ds_load_b128 v[0:3], v40 offset:2000
	v_add_f64_e32 v[6:7], v[34:35], v[148:149]
	s_wait_dscnt 0x0
	v_fma_f64 v[132:133], v[4:5], -0.5, v[0:1]
	v_add_f64_e32 v[4:5], v[36:37], v[96:97]
	s_delay_alu instid0(VALU_DEP_3) | instskip(NEXT) | instid1(VALU_DEP_2)
	v_add_f64_e32 v[6:7], v[6:7], v[80:81]
	v_fma_f64 v[136:137], v[4:5], -0.5, v[0:1]
	v_add_f64_e32 v[4:5], v[62:63], v[86:87]
	v_add_f64_e32 v[0:1], v[0:1], v[36:37]
	s_delay_alu instid0(VALU_DEP_4) | instskip(NEXT) | instid1(VALU_DEP_3)
	v_add_f64_e32 v[6:7], v[6:7], v[88:89]
	v_fma_f64 v[134:135], v[4:5], -0.5, v[2:3]
	v_add_f64_e32 v[4:5], v[38:39], v[98:99]
	s_delay_alu instid0(VALU_DEP_4) | instskip(NEXT) | instid1(VALU_DEP_4)
	v_add_f64_e32 v[0:1], v[0:1], v[60:61]
	v_add_f64_e32 v[6:7], v[6:7], v[104:105]
	s_delay_alu instid0(VALU_DEP_3) | instskip(SKIP_3) | instid1(VALU_DEP_3)
	v_fma_f64 v[138:139], v[4:5], -0.5, v[2:3]
	v_add_f64_e32 v[2:3], v[2:3], v[38:39]
	v_add_f64_e32 v[4:5], v[32:33], v[42:43]
	;; [unrolled: 1-line block ×4, first 2 shown]
	s_delay_alu instid0(VALU_DEP_3) | instskip(NEXT) | instid1(VALU_DEP_3)
	v_add_f64_e32 v[4:5], v[4:5], v[82:83]
	v_add_f64_e32 v[8:9], v[0:1], v[96:97]
	s_delay_alu instid0(VALU_DEP_3) | instskip(NEXT) | instid1(VALU_DEP_3)
	v_add_f64_e32 v[2:3], v[2:3], v[86:87]
	v_add_f64_e32 v[4:5], v[4:5], v[90:91]
	s_delay_alu instid0(VALU_DEP_2) | instskip(NEXT) | instid1(VALU_DEP_2)
	v_add_f64_e32 v[10:11], v[2:3], v[98:99]
	v_add_f64_e32 v[4:5], v[4:5], v[106:107]
	s_delay_alu instid0(VALU_DEP_2) | instskip(NEXT) | instid1(VALU_DEP_2)
	v_add_f64_e32 v[2:3], v[10:11], v[6:7]
	v_add_f64_e32 v[0:1], v[8:9], v[4:5]
	v_add_f64_e64 v[4:5], v[8:9], -v[4:5]
	v_add_f64_e64 v[6:7], v[10:11], -v[6:7]
	ds_load_b128 v[8:11], v40 offset:4000
	global_wb scope:SCOPE_SE
	s_wait_storecnt_dscnt 0x0
	s_barrier_signal -1
	s_barrier_wait -1
	global_inv scope:SCOPE_SE
	ds_store_b128 v172, v[159:162]
	ds_store_b128 v172, v[163:166] offset:6000
	v_add_f64_e64 v[159:160], v[20:21], -v[28:29]
	v_add_f64_e64 v[161:162], v[72:73], -v[52:53]
	v_add_f64_e64 v[20:21], v[28:29], -v[20:21]
	v_add_f64_e64 v[28:29], v[52:53], -v[72:73]
	v_add_f64_e64 v[52:53], v[58:59], -v[94:95]
	v_fma_f64 v[140:141], v[12:13], -0.5, v[8:9]
	v_add_f64_e32 v[12:13], v[64:65], v[116:117]
	s_delay_alu instid0(VALU_DEP_4) | instskip(NEXT) | instid1(VALU_DEP_2)
	v_add_f64_e32 v[28:29], v[20:21], v[28:29]
	v_fma_f64 v[144:145], v[12:13], -0.5, v[8:9]
	v_add_f64_e32 v[12:13], v[78:79], v[110:111]
	v_add_f64_e32 v[8:9], v[8:9], v[64:65]
	s_delay_alu instid0(VALU_DEP_2) | instskip(SKIP_1) | instid1(VALU_DEP_3)
	v_fma_f64 v[142:143], v[12:13], -0.5, v[10:11]
	v_add_f64_e32 v[12:13], v[66:67], v[118:119]
	v_add_f64_e32 v[8:9], v[8:9], v[76:77]
	s_delay_alu instid0(VALU_DEP_2) | instskip(SKIP_2) | instid1(VALU_DEP_4)
	v_fma_f64 v[146:147], v[12:13], -0.5, v[10:11]
	v_add_f64_e32 v[12:13], v[48:49], v[70:71]
	v_add_f64_e32 v[10:11], v[10:11], v[66:67]
	;; [unrolled: 1-line block ×3, first 2 shown]
	s_delay_alu instid0(VALU_DEP_3) | instskip(NEXT) | instid1(VALU_DEP_3)
	v_add_f64_e32 v[12:13], v[12:13], v[102:103]
	v_add_f64_e32 v[10:11], v[10:11], v[78:79]
	s_delay_alu instid0(VALU_DEP_3) | instskip(NEXT) | instid1(VALU_DEP_3)
	v_add_f64_e32 v[167:168], v[8:9], v[116:117]
	v_add_f64_e32 v[12:13], v[12:13], v[114:115]
	s_delay_alu instid0(VALU_DEP_3) | instskip(NEXT) | instid1(VALU_DEP_2)
	v_add_f64_e32 v[10:11], v[10:11], v[110:111]
	v_add_f64_e32 v[12:13], v[12:13], v[122:123]
	s_delay_alu instid0(VALU_DEP_2) | instskip(NEXT) | instid1(VALU_DEP_2)
	v_add_f64_e32 v[169:170], v[10:11], v[118:119]
	v_add_f64_e32 v[8:9], v[167:168], v[12:13]
	v_add_f64_e64 v[12:13], v[167:168], -v[12:13]
	v_add_f64_e32 v[167:168], v[159:160], v[161:162]
	v_add_f64_e64 v[159:160], v[22:23], -v[30:31]
	v_add_f64_e64 v[161:162], v[74:75], -v[54:55]
	v_add_f64_e32 v[10:11], v[169:170], v[14:15]
	v_add_f64_e64 v[14:15], v[169:170], -v[14:15]
	v_add_f64_e64 v[22:23], v[30:31], -v[22:23]
	;; [unrolled: 1-line block ×4, first 2 shown]
	v_add_f64_e32 v[169:170], v[159:160], v[161:162]
	v_add_f64_e64 v[159:160], v[26:27], -v[46:47]
	v_add_f64_e64 v[161:162], v[94:95], -v[58:59]
	v_add_f64_e32 v[30:31], v[22:23], v[30:31]
	s_delay_alu instid0(VALU_DEP_2) | instskip(SKIP_2) | instid1(VALU_DEP_1)
	v_add_f64_e32 v[173:174], v[159:160], v[161:162]
	v_add_f64_e64 v[159:160], v[24:25], -v[44:45]
	v_add_f64_e64 v[161:162], v[92:93], -v[56:57]
	v_add_f64_e32 v[177:178], v[159:160], v[161:162]
	v_add_f64_e32 v[159:160], v[46:47], v[58:59]
	v_add_f64_e64 v[46:47], v[46:47], -v[26:27]
	v_add_f64_e32 v[26:27], v[26:27], v[94:95]
	s_delay_alu instid0(VALU_DEP_3)
	v_fma_f64 v[216:217], v[159:160], -0.5, v[16:17]
	v_add_f64_e32 v[159:160], v[44:45], v[56:57]
	v_add_f64_e64 v[44:45], v[44:45], -v[24:25]
	v_add_f64_e32 v[24:25], v[24:25], v[92:93]
	v_fma_f64 v[26:27], v[26:27], -0.5, v[16:17]
	v_add_f64_e32 v[46:47], v[46:47], v[52:53]
	v_fma_f64 v[161:162], v[224:225], s[16:17], v[216:217]
	v_fma_f64 v[218:219], v[159:160], -0.5, v[18:19]
	v_add_f64_e32 v[44:45], v[44:45], v[54:55]
	v_fma_f64 v[24:25], v[24:25], -0.5, v[18:19]
	v_fma_f64 v[18:19], v[226:227], s[18:19], v[26:27]
	v_fma_f64 v[26:27], v[226:227], s[16:17], v[26:27]
	;; [unrolled: 1-line block ×16, first 2 shown]
	s_delay_alu instid0(VALU_DEP_3) | instskip(SKIP_1) | instid1(VALU_DEP_4)
	v_fma_f64 v[24:25], v[44:45], s[20:21], v[24:25]
	v_mul_f64_e32 v[44:45], s[28:29], v[26:27]
	v_mul_f64_e32 v[163:164], s[12:13], v[159:160]
	s_delay_alu instid0(VALU_DEP_4) | instskip(NEXT) | instid1(VALU_DEP_3)
	v_mul_f64_e32 v[20:21], s[16:17], v[16:17]
	v_fma_f64 v[44:45], v[24:25], s[16:17], v[44:45]
	v_mul_f64_e32 v[24:25], s[28:29], v[24:25]
	s_delay_alu instid0(VALU_DEP_4) | instskip(SKIP_4) | instid1(VALU_DEP_4)
	v_fma_f64 v[163:164], v[161:162], s[26:27], v[163:164]
	v_mul_f64_e32 v[161:162], s[14:15], v[161:162]
	v_fma_f64 v[20:21], v[18:19], s[20:21], v[20:21]
	v_mul_f64_e32 v[18:19], s[18:19], v[18:19]
	v_fma_f64 v[46:47], v[26:27], s[18:19], v[24:25]
	v_fma_f64 v[165:166], v[159:160], s[26:27], v[161:162]
	;; [unrolled: 1-line block ×3, first 2 shown]
	s_delay_alu instid0(VALU_DEP_4) | instskip(SKIP_4) | instid1(VALU_DEP_4)
	v_fma_f64 v[22:23], v[16:17], s[20:21], v[18:19]
	v_fma_f64 v[16:17], v[230:231], s[18:19], v[128:129]
	;; [unrolled: 1-line block ×6, first 2 shown]
	s_delay_alu instid0(VALU_DEP_4) | instskip(NEXT) | instid1(VALU_DEP_4)
	v_fma_f64 v[18:19], v[232:233], s[14:15], v[18:19]
	v_fma_f64 v[161:162], v[234:235], s[14:15], v[161:162]
	s_delay_alu instid0(VALU_DEP_4) | instskip(NEXT) | instid1(VALU_DEP_4)
	v_fma_f64 v[236:237], v[167:168], s[20:21], v[159:160]
	v_fma_f64 v[52:53], v[28:29], s[20:21], v[16:17]
	;; [unrolled: 3-line block ×3, first 2 shown]
	s_delay_alu instid0(VALU_DEP_4)
	v_add_f64_e32 v[159:160], v[236:237], v[163:164]
	v_add_f64_e64 v[163:164], v[236:237], -v[163:164]
	v_add_f64_e32 v[16:17], v[52:53], v[20:21]
	v_add_f64_e64 v[20:21], v[52:53], -v[20:21]
	v_fma_f64 v[52:53], v[230:231], s[16:17], v[128:129]
	v_add_f64_e32 v[18:19], v[54:55], v[22:23]
	v_add_f64_e64 v[22:23], v[54:55], -v[22:23]
	v_fma_f64 v[54:55], v[220:221], s[16:17], v[218:219]
	v_add_f64_e64 v[218:219], v[62:63], -v[86:87]
	v_add_f64_e64 v[220:221], v[36:37], -v[96:97]
	v_add_f64_e32 v[161:162], v[238:239], v[165:166]
	v_add_f64_e64 v[165:166], v[238:239], -v[165:166]
	v_fma_f64 v[52:53], v[228:229], s[14:15], v[52:53]
	v_fma_f64 v[54:55], v[222:223], s[12:13], v[54:55]
	v_add_f64_e64 v[222:223], v[60:61], -v[84:85]
	s_delay_alu instid0(VALU_DEP_3) | instskip(SKIP_1) | instid1(VALU_DEP_2)
	v_fma_f64 v[28:29], v[28:29], s[20:21], v[52:53]
	v_fma_f64 v[52:53], v[234:235], s[18:19], v[130:131]
	v_add_f64_e32 v[24:25], v[28:29], v[44:45]
	s_delay_alu instid0(VALU_DEP_2) | instskip(SKIP_3) | instid1(VALU_DEP_4)
	v_fma_f64 v[52:53], v[232:233], s[12:13], v[52:53]
	v_add_f64_e64 v[28:29], v[28:29], -v[44:45]
	v_fma_f64 v[44:45], v[224:225], s[18:19], v[216:217]
	v_add_f64_e64 v[216:217], v[38:39], -v[98:99]
	v_fma_f64 v[30:31], v[30:31], s[20:21], v[52:53]
	v_fma_f64 v[52:53], v[232:233], s[16:17], v[126:127]
	s_delay_alu instid0(VALU_DEP_4) | instskip(NEXT) | instid1(VALU_DEP_3)
	v_fma_f64 v[44:45], v[226:227], s[14:15], v[44:45]
	v_add_f64_e32 v[26:27], v[30:31], v[46:47]
	v_add_f64_e64 v[30:31], v[30:31], -v[46:47]
	v_fma_f64 v[46:47], v[228:229], s[18:19], v[124:125]
	v_fma_f64 v[52:53], v[234:235], s[12:13], v[52:53]
	v_fma_f64 v[44:45], v[173:174], s[20:21], v[44:45]
	v_add_f64_e64 v[173:174], v[148:149], -v[104:105]
	s_delay_alu instid0(VALU_DEP_4) | instskip(NEXT) | instid1(VALU_DEP_4)
	v_fma_f64 v[46:47], v[230:231], s[14:15], v[46:47]
	v_fma_f64 v[58:59], v[169:170], s[20:21], v[52:53]
	s_delay_alu instid0(VALU_DEP_4) | instskip(SKIP_1) | instid1(VALU_DEP_4)
	v_mul_f64_e32 v[52:53], s[30:31], v[44:45]
	v_add_f64_e64 v[169:170], v[82:83], -v[90:91]
	v_fma_f64 v[56:57], v[167:168], s[20:21], v[46:47]
	v_fma_f64 v[46:47], v[177:178], s[20:21], v[54:55]
	v_add_f64_e64 v[167:168], v[42:43], -v[106:107]
	v_add_f64_e64 v[177:178], v[80:81], -v[88:89]
	s_delay_alu instid0(VALU_DEP_3) | instskip(SKIP_1) | instid1(VALU_DEP_1)
	v_fma_f64 v[52:53], v[46:47], s[12:13], v[52:53]
	v_mul_f64_e32 v[46:47], s[30:31], v[46:47]
	v_fma_f64 v[54:55], v[44:45], s[14:15], v[46:47]
	s_delay_alu instid0(VALU_DEP_3)
	v_add_f64_e32 v[44:45], v[56:57], v[52:53]
	v_add_f64_e64 v[52:53], v[56:57], -v[52:53]
	v_add_f64_e64 v[56:57], v[36:37], -v[60:61]
	;; [unrolled: 1-line block ×4, first 2 shown]
	v_add_f64_e32 v[46:47], v[58:59], v[54:55]
	v_add_f64_e64 v[54:55], v[58:59], -v[54:55]
	v_add_f64_e64 v[58:59], v[96:97], -v[84:85]
	;; [unrolled: 1-line block ×3, first 2 shown]
	ds_store_b128 v172, v[159:162] offset:1200
	ds_store_b128 v172, v[16:19] offset:2400
	;; [unrolled: 1-line block ×8, first 2 shown]
	v_add_f64_e32 v[60:61], v[36:37], v[60:61]
	v_and_b32_e32 v16, 0xffff, v155
	v_add_f64_e32 v[92:93], v[56:57], v[58:59]
	v_add_f64_e64 v[56:57], v[38:39], -v[62:63]
	v_add_f64_e64 v[58:59], v[98:99], -v[86:87]
	;; [unrolled: 1-line block ×4, first 2 shown]
	v_add_f64_e32 v[86:87], v[148:149], v[104:105]
	v_mul_u32_u24_e32 v16, 0x2ee, v16
	s_delay_alu instid0(VALU_DEP_1)
	v_add_lshl_u32 v175, v16, v156, 4
	v_add_f64_e32 v[94:95], v[56:57], v[58:59]
	v_add_f64_e64 v[56:57], v[42:43], -v[82:83]
	v_add_f64_e64 v[58:59], v[106:107], -v[90:91]
	v_fma_f64 v[86:87], v[86:87], -0.5, v[34:35]
	v_add_f64_e32 v[62:63], v[38:39], v[62:63]
	s_delay_alu instid0(VALU_DEP_3) | instskip(SKIP_2) | instid1(VALU_DEP_1)
	v_add_f64_e32 v[124:125], v[56:57], v[58:59]
	v_add_f64_e64 v[56:57], v[148:149], -v[80:81]
	v_add_f64_e64 v[58:59], v[104:105], -v[88:89]
	v_add_f64_e32 v[126:127], v[56:57], v[58:59]
	v_add_f64_e32 v[56:57], v[82:83], v[90:91]
	v_add_f64_e64 v[82:83], v[82:83], -v[42:43]
	v_add_f64_e32 v[41:42], v[42:43], v[106:107]
	s_delay_alu instid0(VALU_DEP_3)
	v_fma_f64 v[128:129], v[56:57], -0.5, v[32:33]
	v_add_f64_e32 v[56:57], v[80:81], v[88:89]
	v_add_f64_e64 v[80:81], v[80:81], -v[148:149]
	v_add_f64_e64 v[88:89], v[88:89], -v[104:105]
	v_fma_f64 v[41:42], v[41:42], -0.5, v[32:33]
	v_fma_f64 v[32:33], v[169:170], s[16:17], v[86:87]
	v_add_f64_e32 v[82:83], v[82:83], v[84:85]
	v_add_f64_e64 v[148:149], v[78:79], -v[110:111]
	v_fma_f64 v[58:59], v[173:174], s[16:17], v[128:129]
	v_fma_f64 v[130:131], v[56:57], -0.5, v[34:35]
	v_add_f64_e32 v[80:81], v[80:81], v[88:89]
	v_fma_f64 v[34:35], v[177:178], s[18:19], v[41:42]
	v_fma_f64 v[32:33], v[167:168], s[14:15], v[32:33]
	;; [unrolled: 1-line block ×11, first 2 shown]
	v_mul_f64_e32 v[36:37], s[16:17], v[32:33]
	v_fma_f64 v[41:42], v[82:83], s[20:21], v[41:42]
	s_delay_alu instid0(VALU_DEP_4) | instskip(NEXT) | instid1(VALU_DEP_3)
	v_fma_f64 v[56:57], v[126:127], s[20:21], v[56:57]
	v_fma_f64 v[36:37], v[34:35], s[20:21], v[36:37]
	v_mul_f64_e32 v[34:35], s[18:19], v[34:35]
	s_delay_alu instid0(VALU_DEP_3) | instskip(NEXT) | instid1(VALU_DEP_2)
	v_mul_f64_e32 v[72:73], s[12:13], v[56:57]
	v_fma_f64 v[38:39], v[32:33], s[20:21], v[34:35]
	v_fma_f64 v[32:33], v[218:219], s[18:19], v[136:137]
	;; [unrolled: 1-line block ×3, first 2 shown]
	s_delay_alu instid0(VALU_DEP_4) | instskip(SKIP_1) | instid1(VALU_DEP_4)
	v_fma_f64 v[72:73], v[58:59], s[26:27], v[72:73]
	v_mul_f64_e32 v[58:59], s[14:15], v[58:59]
	v_fma_f64 v[32:33], v[216:217], s[12:13], v[32:33]
	s_delay_alu instid0(VALU_DEP_4) | instskip(NEXT) | instid1(VALU_DEP_3)
	v_fma_f64 v[34:35], v[220:221], s[14:15], v[34:35]
	v_fma_f64 v[74:75], v[56:57], s[26:27], v[58:59]
	v_fma_f64 v[56:57], v[216:217], s[16:17], v[132:133]
	v_fma_f64 v[58:59], v[220:221], s[18:19], v[134:135]
	v_fma_f64 v[84:85], v[60:61], s[20:21], v[32:33]
	v_fma_f64 v[88:89], v[62:63], s[20:21], v[34:35]
	s_delay_alu instid0(VALU_DEP_4) | instskip(NEXT) | instid1(VALU_DEP_4)
	v_fma_f64 v[56:57], v[218:219], s[12:13], v[56:57]
	v_fma_f64 v[58:59], v[222:223], s[14:15], v[58:59]
	s_delay_alu instid0(VALU_DEP_4)
	v_add_f64_e32 v[32:33], v[84:85], v[36:37]
	v_add_f64_e64 v[36:37], v[84:85], -v[36:37]
	v_fma_f64 v[84:85], v[218:219], s[16:17], v[136:137]
	v_add_f64_e32 v[34:35], v[88:89], v[38:39]
	v_add_f64_e64 v[38:39], v[88:89], -v[38:39]
	v_add_f64_e64 v[136:137], v[100:101], -v[112:113]
	v_fma_f64 v[224:225], v[92:93], s[20:21], v[56:57]
	v_fma_f64 v[226:227], v[94:95], s[20:21], v[58:59]
	;; [unrolled: 1-line block ×3, first 2 shown]
	s_delay_alu instid0(VALU_DEP_3) | instskip(NEXT) | instid1(VALU_DEP_3)
	v_add_f64_e32 v[56:57], v[224:225], v[72:73]
	v_add_f64_e32 v[58:59], v[226:227], v[74:75]
	v_add_f64_e64 v[72:73], v[224:225], -v[72:73]
	v_add_f64_e64 v[74:75], v[226:227], -v[74:75]
	v_fma_f64 v[84:85], v[60:61], s[20:21], v[84:85]
	v_fma_f64 v[60:61], v[222:223], s[18:19], v[138:139]
	v_add_f64_e64 v[138:139], v[66:67], -v[118:119]
	s_delay_alu instid0(VALU_DEP_2) | instskip(NEXT) | instid1(VALU_DEP_1)
	v_fma_f64 v[60:61], v[220:221], s[12:13], v[60:61]
	v_fma_f64 v[88:89], v[62:63], s[20:21], v[60:61]
	v_fma_f64 v[60:61], v[169:170], s[18:19], v[86:87]
	v_mul_f64_e32 v[62:63], s[28:29], v[41:42]
	v_fma_f64 v[86:87], v[220:221], s[16:17], v[134:135]
	v_add_f64_e64 v[134:135], v[68:69], -v[120:121]
	s_delay_alu instid0(VALU_DEP_4) | instskip(NEXT) | instid1(VALU_DEP_3)
	v_fma_f64 v[60:61], v[167:168], s[12:13], v[60:61]
	v_fma_f64 v[86:87], v[222:223], s[12:13], v[86:87]
	s_delay_alu instid0(VALU_DEP_2) | instskip(NEXT) | instid1(VALU_DEP_1)
	v_fma_f64 v[60:61], v[80:81], s[20:21], v[60:61]
	v_fma_f64 v[80:81], v[60:61], s[16:17], v[62:63]
	v_mul_f64_e32 v[60:61], s[28:29], v[60:61]
	s_delay_alu instid0(VALU_DEP_1) | instskip(NEXT) | instid1(VALU_DEP_3)
	v_fma_f64 v[41:42], v[41:42], s[18:19], v[60:61]
	v_add_f64_e32 v[60:61], v[84:85], v[80:81]
	v_add_f64_e64 v[80:81], v[84:85], -v[80:81]
	v_fma_f64 v[84:85], v[216:217], s[18:19], v[132:133]
	v_add_f64_e64 v[132:133], v[102:103], -v[114:115]
	v_add_f64_e32 v[62:63], v[88:89], v[41:42]
	v_add_f64_e64 v[82:83], v[88:89], -v[41:42]
	v_fma_f64 v[41:42], v[173:174], s[18:19], v[128:129]
	v_fma_f64 v[88:89], v[167:168], s[16:17], v[130:131]
	;; [unrolled: 1-line block ×3, first 2 shown]
	v_add_f64_e64 v[130:131], v[70:71], -v[122:123]
	v_add_f64_e64 v[167:168], v[64:65], -v[116:117]
	v_fma_f64 v[41:42], v[177:178], s[14:15], v[41:42]
	v_fma_f64 v[88:89], v[169:170], s[12:13], v[88:89]
	;; [unrolled: 1-line block ×4, first 2 shown]
	v_add_f64_e64 v[94:95], v[118:119], -v[110:111]
	v_add_f64_e64 v[169:170], v[76:77], -v[108:109]
	v_fma_f64 v[41:42], v[124:125], s[20:21], v[41:42]
	v_fma_f64 v[84:85], v[126:127], s[20:21], v[88:89]
	s_delay_alu instid0(VALU_DEP_2) | instskip(NEXT) | instid1(VALU_DEP_1)
	v_mul_f64_e32 v[86:87], s[30:31], v[41:42]
	v_fma_f64 v[88:89], v[84:85], s[12:13], v[86:87]
	v_mul_f64_e32 v[84:85], s[30:31], v[84:85]
	s_delay_alu instid0(VALU_DEP_1) | instskip(NEXT) | instid1(VALU_DEP_3)
	v_fma_f64 v[41:42], v[41:42], s[14:15], v[84:85]
	v_add_f64_e32 v[84:85], v[90:91], v[88:89]
	v_add_f64_e64 v[88:89], v[90:91], -v[88:89]
	s_delay_alu instid0(VALU_DEP_3)
	v_add_f64_e32 v[86:87], v[92:93], v[41:42]
	v_add_f64_e64 v[90:91], v[92:93], -v[41:42]
	v_add_f64_e64 v[41:42], v[64:65], -v[76:77]
	;; [unrolled: 1-line block ×6, first 2 shown]
	ds_store_b128 v175, v[0:3]
	ds_store_b128 v175, v[56:59] offset:1200
	ds_store_b128 v175, v[32:35] offset:2400
	;; [unrolled: 1-line block ×9, first 2 shown]
	v_mad_u16 v0, 0x2ee, v157, v158
	v_lshlrev_b32_e32 v6, 6, v171
	v_lshlrev_b32_e32 v60, 6, v176
	s_delay_alu instid0(VALU_DEP_3)
	v_and_b32_e32 v0, 0xffff, v0
	v_add_f64_e32 v[41:42], v[41:42], v[92:93]
	v_add_f64_e64 v[92:93], v[66:67], -v[78:79]
	v_add_f64_e64 v[66:67], v[78:79], -v[66:67]
	;; [unrolled: 1-line block ×4, first 2 shown]
	v_add_f64_e32 v[76:77], v[64:65], v[76:77]
	v_add_f64_e32 v[104:105], v[92:93], v[94:95]
	v_add_f64_e64 v[92:93], v[70:71], -v[102:103]
	v_add_f64_e64 v[94:95], v[122:123], -v[114:115]
	v_add_f64_e32 v[78:79], v[66:67], v[78:79]
	s_delay_alu instid0(VALU_DEP_2) | instskip(SKIP_2) | instid1(VALU_DEP_1)
	v_add_f64_e32 v[106:107], v[92:93], v[94:95]
	v_add_f64_e64 v[92:93], v[68:69], -v[100:101]
	v_add_f64_e64 v[94:95], v[120:121], -v[112:113]
	v_add_f64_e32 v[124:125], v[92:93], v[94:95]
	v_add_f64_e32 v[92:93], v[102:103], v[114:115]
	v_add_f64_e64 v[102:103], v[102:103], -v[70:71]
	v_add_f64_e32 v[70:71], v[70:71], v[122:123]
	s_delay_alu instid0(VALU_DEP_3)
	v_fma_f64 v[126:127], v[92:93], -0.5, v[48:49]
	v_add_f64_e32 v[92:93], v[100:101], v[112:113]
	v_add_f64_e64 v[100:101], v[100:101], -v[68:69]
	v_add_f64_e32 v[68:69], v[68:69], v[120:121]
	v_fma_f64 v[70:71], v[70:71], -0.5, v[48:49]
	v_add_f64_e32 v[102:103], v[102:103], v[108:109]
	v_fma_f64 v[94:95], v[134:135], s[16:17], v[126:127]
	v_fma_f64 v[128:129], v[92:93], -0.5, v[50:51]
	v_add_f64_e32 v[100:101], v[100:101], v[110:111]
	v_fma_f64 v[68:69], v[68:69], -0.5, v[50:51]
	v_fma_f64 v[50:51], v[136:137], s[18:19], v[70:71]
	v_fma_f64 v[70:71], v[136:137], s[16:17], v[70:71]
	;; [unrolled: 1-line block ×16, first 2 shown]
	s_delay_alu instid0(VALU_DEP_3) | instskip(SKIP_1) | instid1(VALU_DEP_4)
	v_fma_f64 v[68:69], v[100:101], s[20:21], v[68:69]
	v_mul_f64_e32 v[100:101], s[28:29], v[70:71]
	v_mul_f64_e32 v[96:97], s[12:13], v[92:93]
	s_delay_alu instid0(VALU_DEP_4) | instskip(NEXT) | instid1(VALU_DEP_3)
	v_mul_f64_e32 v[64:65], s[16:17], v[48:49]
	v_fma_f64 v[100:101], v[68:69], s[16:17], v[100:101]
	v_mul_f64_e32 v[68:69], s[28:29], v[68:69]
	s_delay_alu instid0(VALU_DEP_4) | instskip(SKIP_4) | instid1(VALU_DEP_4)
	v_fma_f64 v[96:97], v[94:95], s[26:27], v[96:97]
	v_mul_f64_e32 v[94:95], s[14:15], v[94:95]
	v_fma_f64 v[64:65], v[50:51], s[20:21], v[64:65]
	v_mul_f64_e32 v[50:51], s[18:19], v[50:51]
	v_fma_f64 v[102:103], v[70:71], s[18:19], v[68:69]
	v_fma_f64 v[98:99], v[92:93], s[26:27], v[94:95]
	;; [unrolled: 1-line block ×3, first 2 shown]
	s_delay_alu instid0(VALU_DEP_4) | instskip(SKIP_4) | instid1(VALU_DEP_4)
	v_fma_f64 v[66:67], v[48:49], s[20:21], v[50:51]
	v_fma_f64 v[48:49], v[148:149], s[18:19], v[144:145]
	;; [unrolled: 1-line block ×6, first 2 shown]
	s_delay_alu instid0(VALU_DEP_4) | instskip(NEXT) | instid1(VALU_DEP_4)
	v_fma_f64 v[50:51], v[167:168], s[14:15], v[50:51]
	v_fma_f64 v[94:95], v[169:170], s[14:15], v[94:95]
	s_delay_alu instid0(VALU_DEP_4) | instskip(NEXT) | instid1(VALU_DEP_4)
	v_fma_f64 v[173:174], v[41:42], s[20:21], v[92:93]
	v_fma_f64 v[108:109], v[76:77], s[20:21], v[48:49]
	;; [unrolled: 3-line block ×3, first 2 shown]
	s_delay_alu instid0(VALU_DEP_4)
	v_add_f64_e32 v[92:93], v[173:174], v[96:97]
	v_add_f64_e64 v[96:97], v[173:174], -v[96:97]
	v_add_f64_e32 v[48:49], v[108:109], v[64:65]
	v_add_f64_e64 v[64:65], v[108:109], -v[64:65]
	v_fma_f64 v[108:109], v[148:149], s[16:17], v[144:145]
	v_add_f64_e32 v[50:51], v[110:111], v[66:67]
	v_add_f64_e64 v[66:67], v[110:111], -v[66:67]
	v_fma_f64 v[110:111], v[130:131], s[16:17], v[128:129]
	;; [unrolled: 3-line block ×3, first 2 shown]
	s_delay_alu instid0(VALU_DEP_4) | instskip(NEXT) | instid1(VALU_DEP_2)
	v_fma_f64 v[110:111], v[132:133], s[12:13], v[110:111]
	v_fma_f64 v[76:77], v[76:77], s[20:21], v[108:109]
	;; [unrolled: 1-line block ×3, first 2 shown]
	s_delay_alu instid0(VALU_DEP_2) | instskip(NEXT) | instid1(VALU_DEP_2)
	v_add_f64_e32 v[68:69], v[76:77], v[100:101]
	v_fma_f64 v[108:109], v[167:168], s[12:13], v[108:109]
	v_add_f64_e64 v[76:77], v[76:77], -v[100:101]
	v_fma_f64 v[100:101], v[134:135], s[18:19], v[126:127]
	s_delay_alu instid0(VALU_DEP_3) | instskip(SKIP_1) | instid1(VALU_DEP_3)
	v_fma_f64 v[78:79], v[78:79], s[20:21], v[108:109]
	v_fma_f64 v[108:109], v[167:168], s[16:17], v[142:143]
	;; [unrolled: 1-line block ×3, first 2 shown]
	s_delay_alu instid0(VALU_DEP_3) | instskip(SKIP_4) | instid1(VALU_DEP_3)
	v_add_f64_e32 v[70:71], v[78:79], v[102:103]
	v_add_f64_e64 v[78:79], v[78:79], -v[102:103]
	v_fma_f64 v[102:103], v[138:139], s[18:19], v[140:141]
	v_fma_f64 v[108:109], v[169:170], s[12:13], v[108:109]
	;; [unrolled: 1-line block ×4, first 2 shown]
	s_delay_alu instid0(VALU_DEP_3) | instskip(NEXT) | instid1(VALU_DEP_3)
	v_fma_f64 v[106:107], v[104:105], s[20:21], v[108:109]
	v_mul_f64_e32 v[104:105], s[30:31], v[100:101]
	s_delay_alu instid0(VALU_DEP_3) | instskip(SKIP_1) | instid1(VALU_DEP_1)
	v_fma_f64 v[41:42], v[41:42], s[20:21], v[102:103]
	v_fma_f64 v[102:103], v[124:125], s[20:21], v[110:111]
	;; [unrolled: 1-line block ×3, first 2 shown]
	v_mul_f64_e32 v[102:103], s[30:31], v[102:103]
	s_delay_alu instid0(VALU_DEP_1) | instskip(NEXT) | instid1(VALU_DEP_3)
	v_fma_f64 v[108:109], v[100:101], s[14:15], v[102:103]
	v_add_f64_e32 v[100:101], v[41:42], v[104:105]
	v_add_f64_e64 v[104:105], v[41:42], -v[104:105]
	v_lshlrev_b32_e32 v41, 4, v0
	s_delay_alu instid0(VALU_DEP_4)
	v_add_f64_e32 v[102:103], v[106:107], v[108:109]
	v_add_f64_e64 v[106:107], v[106:107], -v[108:109]
	ds_store_b128 v41, v[8:11]
	ds_store_b128 v41, v[92:95] offset:1200
	ds_store_b128 v41, v[48:51] offset:2400
	;; [unrolled: 1-line block ×9, first 2 shown]
	global_wb scope:SCOPE_SE
	s_wait_dscnt 0x0
	s_barrier_signal -1
	s_barrier_wait -1
	global_inv scope:SCOPE_SE
	s_clause 0x3
	global_load_b128 v[12:15], v6, s[10:11] offset:11952
	global_load_b128 v[16:19], v6, s[10:11] offset:11968
	;; [unrolled: 1-line block ×4, first 2 shown]
	ds_load_b128 v[0:3], v40 offset:12000
	s_clause 0x3
	global_load_b128 v[218:221], v60, s[10:11] offset:11984
	global_load_b128 v[94:97], v60, s[10:11] offset:12000
	;; [unrolled: 1-line block ×4, first 2 shown]
	s_wait_loadcnt_dscnt 0x700
	v_mul_f64_e32 v[4:5], v[2:3], v[14:15]
	scratch_store_b128 off, v[12:15], off offset:1684 ; 16-byte Folded Spill
	s_wait_loadcnt 0x6
	scratch_store_b128 off, v[16:19], off offset:1668 ; 16-byte Folded Spill
	s_wait_loadcnt 0x5
	;; [unrolled: 2-line block ×4, first 2 shown]
	scratch_store_b128 off, v[94:97], off offset:1764 ; 16-byte Folded Spill
	v_fma_f64 v[10:11], v[0:1], v[12:13], -v[4:5]
	v_mul_f64_e32 v[0:1], v[0:1], v[14:15]
	s_delay_alu instid0(VALU_DEP_1) | instskip(SKIP_3) | instid1(VALU_DEP_1)
	v_fma_f64 v[12:13], v[2:3], v[12:13], v[0:1]
	ds_load_b128 v[0:3], v40 offset:24000
	s_wait_dscnt 0x0
	v_mul_f64_e32 v[4:5], v[2:3], v[18:19]
	v_fma_f64 v[14:15], v[0:1], v[16:17], -v[4:5]
	v_mul_f64_e32 v[0:1], v[0:1], v[18:19]
	s_delay_alu instid0(VALU_DEP_1) | instskip(SKIP_3) | instid1(VALU_DEP_1)
	v_fma_f64 v[16:17], v[2:3], v[16:17], v[0:1]
	ds_load_b128 v[0:3], v40 offset:36000
	s_wait_dscnt 0x0
	v_mul_f64_e32 v[4:5], v[2:3], v[22:23]
	v_fma_f64 v[18:19], v[0:1], v[20:21], -v[4:5]
	v_mul_f64_e32 v[0:1], v[0:1], v[22:23]
	s_delay_alu instid0(VALU_DEP_2) | instskip(NEXT) | instid1(VALU_DEP_2)
	v_add_f64_e32 v[98:99], v[14:15], v[18:19]
	v_fma_f64 v[20:21], v[2:3], v[20:21], v[0:1]
	ds_load_b128 v[0:3], v40 offset:48000
	v_add_f64_e64 v[110:111], v[14:15], -v[18:19]
	s_wait_dscnt 0x0
	v_mul_f64_e32 v[4:5], v[2:3], v[8:9]
	v_add_f64_e32 v[100:101], v[16:17], v[20:21]
	v_add_f64_e64 v[106:107], v[16:17], -v[20:21]
	s_delay_alu instid0(VALU_DEP_3) | instskip(SKIP_1) | instid1(VALU_DEP_2)
	v_fma_f64 v[22:23], v[0:1], v[6:7], -v[4:5]
	v_mul_f64_e32 v[0:1], v[0:1], v[8:9]
	v_add_f64_e64 v[108:109], v[10:11], -v[22:23]
	s_delay_alu instid0(VALU_DEP_2)
	v_fma_f64 v[24:25], v[2:3], v[6:7], v[0:1]
	v_lshlrev_b32_e32 v6, 6, v153
	ds_load_b128 v[0:3], v40 offset:14000
	s_clause 0x1
	global_load_b128 v[28:31], v6, s[10:11] offset:11952
	global_load_b128 v[32:35], v6, s[10:11] offset:11968
	v_add_f64_e64 v[104:105], v[12:13], -v[24:25]
	s_wait_loadcnt_dscnt 0x100
	v_mul_f64_e32 v[4:5], v[2:3], v[30:31]
	scratch_store_b128 off, v[28:31], off offset:1748 ; 16-byte Folded Spill
	s_wait_loadcnt 0x0
	scratch_store_b128 off, v[32:35], off offset:1716 ; 16-byte Folded Spill
	v_fma_f64 v[26:27], v[0:1], v[28:29], -v[4:5]
	v_mul_f64_e32 v[0:1], v[0:1], v[30:31]
	s_delay_alu instid0(VALU_DEP_1) | instskip(SKIP_3) | instid1(VALU_DEP_1)
	v_fma_f64 v[28:29], v[2:3], v[28:29], v[0:1]
	ds_load_b128 v[0:3], v40 offset:26000
	s_wait_dscnt 0x0
	v_mul_f64_e32 v[4:5], v[2:3], v[34:35]
	v_fma_f64 v[30:31], v[0:1], v[32:33], -v[4:5]
	v_mul_f64_e32 v[0:1], v[0:1], v[34:35]
	s_delay_alu instid0(VALU_DEP_1)
	v_fma_f64 v[36:37], v[2:3], v[32:33], v[0:1]
	s_clause 0x1
	global_load_b128 v[32:35], v6, s[10:11] offset:11984
	global_load_b128 v[6:9], v6, s[10:11] offset:12000
	ds_load_b128 v[0:3], v40 offset:38000
	s_wait_loadcnt_dscnt 0x100
	v_mul_f64_e32 v[4:5], v[2:3], v[34:35]
	scratch_store_b128 off, v[32:35], off offset:1700 ; 16-byte Folded Spill
	s_wait_loadcnt 0x0
	scratch_store_b128 off, v[6:9], off offset:1732 ; 16-byte Folded Spill
	v_fma_f64 v[38:39], v[0:1], v[32:33], -v[4:5]
	v_mul_f64_e32 v[0:1], v[0:1], v[34:35]
	s_delay_alu instid0(VALU_DEP_1)
	v_fma_f64 v[48:49], v[2:3], v[32:33], v[0:1]
	ds_load_b128 v[0:3], v40 offset:50000
	v_lshlrev_b32_e32 v32, 6, v154
	s_clause 0x1
	global_load_b128 v[250:253], v32, s[10:11] offset:11968
	global_load_b128 v[52:55], v32, s[10:11] offset:11984
	s_wait_dscnt 0x0
	v_mul_f64_e32 v[4:5], v[2:3], v[8:9]
	s_delay_alu instid0(VALU_DEP_1) | instskip(SKIP_1) | instid1(VALU_DEP_1)
	v_fma_f64 v[50:51], v[0:1], v[6:7], -v[4:5]
	v_mul_f64_e32 v[0:1], v[0:1], v[8:9]
	v_fma_f64 v[92:93], v[2:3], v[6:7], v[0:1]
	s_clause 0x1
	global_load_b128 v[6:9], v32, s[10:11] offset:11952
	global_load_b128 v[32:35], v32, s[10:11] offset:12000
	ds_load_b128 v[0:3], v40 offset:16000
	s_wait_loadcnt_dscnt 0x100
	v_mul_f64_e32 v[4:5], v[2:3], v[8:9]
	scratch_store_b128 off, v[6:9], off offset:1796 ; 16-byte Folded Spill
	s_wait_loadcnt 0x0
	scratch_store_b128 off, v[32:35], off offset:1780 ; 16-byte Folded Spill
	v_fma_f64 v[46:47], v[0:1], v[6:7], -v[4:5]
	v_mul_f64_e32 v[0:1], v[0:1], v[8:9]
	s_delay_alu instid0(VALU_DEP_1) | instskip(SKIP_3) | instid1(VALU_DEP_1)
	v_fma_f64 v[4:5], v[2:3], v[6:7], v[0:1]
	ds_load_b128 v[0:3], v40 offset:28000
	s_wait_dscnt 0x0
	v_mul_f64_e32 v[6:7], v[2:3], v[252:253]
	v_fma_f64 v[44:45], v[0:1], v[250:251], -v[6:7]
	v_mul_f64_e32 v[0:1], v[0:1], v[252:253]
	ds_load_b128 v[6:9], v40 offset:40000
	v_fma_f64 v[148:149], v[2:3], v[250:251], v[0:1]
	s_wait_dscnt 0x0
	v_mul_f64_e32 v[0:1], v[8:9], v[54:55]
	s_delay_alu instid0(VALU_DEP_1) | instskip(SKIP_1) | instid1(VALU_DEP_2)
	v_fma_f64 v[2:3], v[6:7], v[52:53], -v[0:1]
	v_mul_f64_e32 v[0:1], v[6:7], v[54:55]
	v_add_f64_e64 v[128:129], v[44:45], -v[2:3]
	s_delay_alu instid0(VALU_DEP_2) | instskip(SKIP_3) | instid1(VALU_DEP_1)
	v_fma_f64 v[178:179], v[8:9], v[52:53], v[0:1]
	ds_load_b128 v[6:9], v40 offset:52000
	s_wait_dscnt 0x0
	v_mul_f64_e32 v[0:1], v[8:9], v[34:35]
	v_fma_f64 v[0:1], v[6:7], v[32:33], -v[0:1]
	v_mul_f64_e32 v[6:7], v[6:7], v[34:35]
	v_lshlrev_b32_e32 v34, 6, v152
	s_clause 0x3
	global_load_b128 v[246:249], v34, s[10:11] offset:11952
	global_load_b128 v[242:245], v34, s[10:11] offset:11968
	;; [unrolled: 1-line block ×4, first 2 shown]
	v_lshlrev_b32_e32 v34, 6, v151
	scratch_store_b128 off, v[52:55], off offset:1812 ; 16-byte Folded Spill
	s_clause 0x3
	global_load_b128 v[164:167], v34, s[10:11] offset:11984
	global_load_b128 v[226:229], v34, s[10:11] offset:11952
	;; [unrolled: 1-line block ×4, first 2 shown]
	v_fma_f64 v[42:43], v[8:9], v[32:33], v[6:7]
	ds_load_b128 v[6:9], v40 offset:18000
	s_wait_loadcnt_dscnt 0x700
	v_mul_f64_e32 v[32:33], v[8:9], v[248:249]
	s_delay_alu instid0(VALU_DEP_1) | instskip(SKIP_1) | instid1(VALU_DEP_1)
	v_fma_f64 v[82:83], v[6:7], v[246:247], -v[32:33]
	v_mul_f64_e32 v[6:7], v[6:7], v[248:249]
	v_fma_f64 v[80:81], v[8:9], v[246:247], v[6:7]
	ds_load_b128 v[6:9], v40 offset:30000
	s_wait_loadcnt_dscnt 0x600
	v_mul_f64_e32 v[32:33], v[8:9], v[244:245]
	s_delay_alu instid0(VALU_DEP_1) | instskip(SKIP_1) | instid1(VALU_DEP_1)
	v_fma_f64 v[88:89], v[6:7], v[242:243], -v[32:33]
	v_mul_f64_e32 v[6:7], v[6:7], v[244:245]
	v_fma_f64 v[84:85], v[8:9], v[242:243], v[6:7]
	ds_load_b128 v[6:9], v40 offset:42000
	s_wait_loadcnt_dscnt 0x500
	v_mul_f64_e32 v[32:33], v[8:9], v[240:241]
	s_delay_alu instid0(VALU_DEP_1) | instskip(SKIP_1) | instid1(VALU_DEP_2)
	v_fma_f64 v[90:91], v[6:7], v[238:239], -v[32:33]
	v_mul_f64_e32 v[6:7], v[6:7], v[240:241]
	v_add_f64_e64 v[132:133], v[88:89], -v[90:91]
	s_delay_alu instid0(VALU_DEP_2) | instskip(SKIP_3) | instid1(VALU_DEP_1)
	v_fma_f64 v[86:87], v[8:9], v[238:239], v[6:7]
	ds_load_b128 v[6:9], v40 offset:54000
	s_wait_loadcnt_dscnt 0x400
	v_mul_f64_e32 v[32:33], v[8:9], v[236:237]
	v_fma_f64 v[216:217], v[6:7], v[234:235], -v[32:33]
	v_mul_f64_e32 v[6:7], v[6:7], v[236:237]
	s_delay_alu instid0(VALU_DEP_2) | instskip(NEXT) | instid1(VALU_DEP_2)
	v_add_f64_e64 v[130:131], v[82:83], -v[216:217]
	v_fma_f64 v[254:255], v[8:9], v[234:235], v[6:7]
	ds_load_b128 v[6:9], v40 offset:20000
	s_wait_loadcnt_dscnt 0x200
	v_mul_f64_e32 v[32:33], v[8:9], v[228:229]
	s_delay_alu instid0(VALU_DEP_1) | instskip(SKIP_1) | instid1(VALU_DEP_1)
	v_fma_f64 v[66:67], v[6:7], v[226:227], -v[32:33]
	v_mul_f64_e32 v[6:7], v[6:7], v[228:229]
	v_fma_f64 v[64:65], v[8:9], v[226:227], v[6:7]
	ds_load_b128 v[6:9], v40 offset:32000
	s_wait_loadcnt_dscnt 0x100
	v_mul_f64_e32 v[32:33], v[8:9], v[162:163]
	s_delay_alu instid0(VALU_DEP_1) | instskip(SKIP_1) | instid1(VALU_DEP_1)
	v_fma_f64 v[74:75], v[6:7], v[160:161], -v[32:33]
	v_mul_f64_e32 v[6:7], v[6:7], v[162:163]
	v_fma_f64 v[68:69], v[8:9], v[160:161], v[6:7]
	ds_load_b128 v[6:9], v40 offset:44000
	s_wait_dscnt 0x0
	v_mul_f64_e32 v[32:33], v[8:9], v[166:167]
	s_delay_alu instid0(VALU_DEP_1) | instskip(SKIP_1) | instid1(VALU_DEP_2)
	v_fma_f64 v[72:73], v[6:7], v[164:165], -v[32:33]
	v_mul_f64_e32 v[6:7], v[6:7], v[166:167]
	v_add_f64_e64 v[134:135], v[74:75], -v[72:73]
	s_delay_alu instid0(VALU_DEP_2) | instskip(SKIP_3) | instid1(VALU_DEP_1)
	v_fma_f64 v[70:71], v[8:9], v[164:165], v[6:7]
	ds_load_b128 v[6:9], v40 offset:56000
	s_wait_loadcnt_dscnt 0x0
	v_mul_f64_e32 v[32:33], v[8:9], v[232:233]
	v_fma_f64 v[76:77], v[6:7], v[230:231], -v[32:33]
	v_mul_f64_e32 v[6:7], v[6:7], v[232:233]
	s_delay_alu instid0(VALU_DEP_1) | instskip(SKIP_3) | instid1(VALU_DEP_1)
	v_fma_f64 v[78:79], v[8:9], v[230:231], v[6:7]
	ds_load_b128 v[6:9], v40 offset:22000
	s_wait_dscnt 0x0
	v_mul_f64_e32 v[32:33], v[8:9], v[224:225]
	v_fma_f64 v[34:35], v[6:7], v[222:223], -v[32:33]
	v_mul_f64_e32 v[6:7], v[6:7], v[224:225]
	s_delay_alu instid0(VALU_DEP_1) | instskip(SKIP_3) | instid1(VALU_DEP_1)
	v_fma_f64 v[32:33], v[8:9], v[222:223], v[6:7]
	ds_load_b128 v[6:9], v40 offset:34000
	s_wait_dscnt 0x0
	v_mul_f64_e32 v[52:53], v[8:9], v[158:159]
	v_fma_f64 v[52:53], v[6:7], v[156:157], -v[52:53]
	v_mul_f64_e32 v[6:7], v[6:7], v[158:159]
	s_delay_alu instid0(VALU_DEP_2) | instskip(NEXT) | instid1(VALU_DEP_2)
	v_add_f64_e64 v[138:139], v[34:35], -v[52:53]
	v_fma_f64 v[54:55], v[8:9], v[156:157], v[6:7]
	ds_load_b128 v[6:9], v40 offset:46000
	s_wait_dscnt 0x0
	v_mul_f64_e32 v[56:57], v[8:9], v[220:221]
	s_delay_alu instid0(VALU_DEP_1) | instskip(SKIP_1) | instid1(VALU_DEP_1)
	v_fma_f64 v[58:59], v[6:7], v[218:219], -v[56:57]
	v_mul_f64_e32 v[6:7], v[6:7], v[220:221]
	v_fma_f64 v[56:57], v[8:9], v[218:219], v[6:7]
	ds_load_b128 v[6:9], v40 offset:58000
	s_wait_dscnt 0x0
	v_mul_f64_e32 v[60:61], v[8:9], v[96:97]
	s_delay_alu instid0(VALU_DEP_1) | instskip(SKIP_1) | instid1(VALU_DEP_1)
	v_fma_f64 v[60:61], v[6:7], v[94:95], -v[60:61]
	v_mul_f64_e32 v[6:7], v[6:7], v[96:97]
	v_fma_f64 v[62:63], v[8:9], v[94:95], v[6:7]
	v_add_f64_e64 v[6:7], v[10:11], -v[14:15]
	v_add_f64_e64 v[8:9], v[22:23], -v[18:19]
	s_delay_alu instid0(VALU_DEP_1) | instskip(SKIP_2) | instid1(VALU_DEP_1)
	v_add_f64_e32 v[94:95], v[6:7], v[8:9]
	v_add_f64_e64 v[6:7], v[12:13], -v[16:17]
	v_add_f64_e64 v[8:9], v[24:25], -v[20:21]
	v_add_f64_e32 v[96:97], v[6:7], v[8:9]
	ds_load_b128 v[6:9], v40
	s_wait_dscnt 0x0
	v_fma_f64 v[98:99], v[98:99], -0.5, v[6:7]
	v_fma_f64 v[100:101], v[100:101], -0.5, v[8:9]
	s_delay_alu instid0(VALU_DEP_2) | instskip(NEXT) | instid1(VALU_DEP_2)
	v_fma_f64 v[102:103], v[104:105], s[16:17], v[98:99]
	v_fma_f64 v[112:113], v[108:109], s[18:19], v[100:101]
	;; [unrolled: 1-line block ×4, first 2 shown]
	s_delay_alu instid0(VALU_DEP_4) | instskip(NEXT) | instid1(VALU_DEP_4)
	v_fma_f64 v[102:103], v[106:107], s[12:13], v[102:103]
	v_fma_f64 v[112:113], v[110:111], s[14:15], v[112:113]
	s_delay_alu instid0(VALU_DEP_4) | instskip(NEXT) | instid1(VALU_DEP_4)
	v_fma_f64 v[98:99], v[106:107], s[14:15], v[98:99]
	v_fma_f64 v[100:101], v[110:111], s[12:13], v[100:101]
	;; [unrolled: 3-line block ×4, first 2 shown]
	v_add_f64_e32 v[94:95], v[10:11], v[22:23]
	v_add_f64_e32 v[96:97], v[12:13], v[24:25]
	s_delay_alu instid0(VALU_DEP_2) | instskip(NEXT) | instid1(VALU_DEP_2)
	v_fma_f64 v[94:95], v[94:95], -0.5, v[6:7]
	v_fma_f64 v[96:97], v[96:97], -0.5, v[8:9]
	v_add_f64_e32 v[6:7], v[6:7], v[10:11]
	v_add_f64_e32 v[8:9], v[8:9], v[12:13]
	v_add_f64_e64 v[10:11], v[14:15], -v[10:11]
	v_add_f64_e64 v[12:13], v[16:17], -v[12:13]
	s_delay_alu instid0(VALU_DEP_4) | instskip(NEXT) | instid1(VALU_DEP_4)
	v_add_f64_e32 v[6:7], v[6:7], v[14:15]
	v_add_f64_e32 v[8:9], v[8:9], v[16:17]
	v_add_f64_e64 v[14:15], v[18:19], -v[22:23]
	v_fma_f64 v[16:17], v[106:107], s[16:17], v[94:95]
	s_delay_alu instid0(VALU_DEP_4) | instskip(NEXT) | instid1(VALU_DEP_4)
	v_add_f64_e32 v[6:7], v[6:7], v[18:19]
	v_add_f64_e32 v[8:9], v[8:9], v[20:21]
	v_fma_f64 v[18:19], v[110:111], s[16:17], v[96:97]
	v_add_f64_e32 v[10:11], v[10:11], v[14:15]
	s_delay_alu instid0(VALU_DEP_4) | instskip(NEXT) | instid1(VALU_DEP_4)
	v_add_f64_e32 v[100:101], v[6:7], v[22:23]
	v_add_f64_e32 v[102:103], v[8:9], v[24:25]
	v_add_f64_e64 v[6:7], v[20:21], -v[24:25]
	v_fma_f64 v[8:9], v[106:107], s[18:19], v[94:95]
	v_fma_f64 v[20:21], v[110:111], s[18:19], v[96:97]
	v_fma_f64 v[14:15], v[108:109], s[14:15], v[18:19]
	v_add_f64_e64 v[18:19], v[28:29], -v[92:93]
	v_add_f64_e64 v[94:95], v[26:27], -v[50:51]
	v_add_f64_e64 v[24:25], v[36:37], -v[48:49]
	v_add_f64_e64 v[96:97], v[30:31], -v[38:39]
	v_add_f64_e32 v[6:7], v[12:13], v[6:7]
	v_fma_f64 v[8:9], v[104:105], s[12:13], v[8:9]
	v_fma_f64 v[12:13], v[104:105], s[14:15], v[16:17]
	;; [unrolled: 1-line block ×3, first 2 shown]
	s_delay_alu instid0(VALU_DEP_4) | instskip(NEXT) | instid1(VALU_DEP_4)
	v_fma_f64 v[118:119], v[6:7], s[20:21], v[14:15]
	v_fma_f64 v[116:117], v[10:11], s[20:21], v[8:9]
	v_add_f64_e64 v[8:9], v[50:51], -v[38:39]
	s_delay_alu instid0(VALU_DEP_4) | instskip(SKIP_4) | instid1(VALU_DEP_4)
	v_fma_f64 v[114:115], v[6:7], s[20:21], v[16:17]
	v_add_f64_e64 v[6:7], v[26:27], -v[30:31]
	v_fma_f64 v[112:113], v[10:11], s[20:21], v[12:13]
	v_add_f64_e32 v[14:15], v[30:31], v[38:39]
	v_add_f64_e32 v[16:17], v[36:37], v[48:49]
	;; [unrolled: 1-line block ×3, first 2 shown]
	v_add_f64_e64 v[6:7], v[28:29], -v[36:37]
	v_add_f64_e64 v[8:9], v[92:93], -v[48:49]
	s_delay_alu instid0(VALU_DEP_1) | instskip(SKIP_4) | instid1(VALU_DEP_2)
	v_add_f64_e32 v[12:13], v[6:7], v[8:9]
	ds_load_b128 v[6:9], v40 offset:2000
	s_wait_dscnt 0x0
	v_fma_f64 v[14:15], v[14:15], -0.5, v[6:7]
	v_fma_f64 v[16:17], v[16:17], -0.5, v[8:9]
	v_fma_f64 v[20:21], v[18:19], s[16:17], v[14:15]
	s_delay_alu instid0(VALU_DEP_2) | instskip(SKIP_2) | instid1(VALU_DEP_4)
	v_fma_f64 v[22:23], v[94:95], s[18:19], v[16:17]
	v_fma_f64 v[14:15], v[18:19], s[18:19], v[14:15]
	;; [unrolled: 1-line block ×4, first 2 shown]
	s_delay_alu instid0(VALU_DEP_4) | instskip(NEXT) | instid1(VALU_DEP_4)
	v_fma_f64 v[22:23], v[96:97], s[14:15], v[22:23]
	v_fma_f64 v[14:15], v[24:25], s[14:15], v[14:15]
	s_delay_alu instid0(VALU_DEP_4) | instskip(NEXT) | instid1(VALU_DEP_4)
	v_fma_f64 v[16:17], v[96:97], s[12:13], v[16:17]
	v_fma_f64 v[108:109], v[10:11], s[20:21], v[20:21]
	;; [unrolled: 3-line block ×3, first 2 shown]
	s_delay_alu instid0(VALU_DEP_4) | instskip(SKIP_4) | instid1(VALU_DEP_4)
	v_fma_f64 v[106:107], v[12:13], s[20:21], v[16:17]
	v_add_f64_e32 v[10:11], v[26:27], v[50:51]
	v_add_f64_e32 v[12:13], v[28:29], v[92:93]
	v_add_f64_e64 v[14:15], v[30:31], -v[26:27]
	v_add_f64_e64 v[16:17], v[36:37], -v[28:29]
	v_fma_f64 v[10:11], v[10:11], -0.5, v[6:7]
	s_delay_alu instid0(VALU_DEP_4) | instskip(SKIP_3) | instid1(VALU_DEP_3)
	v_fma_f64 v[12:13], v[12:13], -0.5, v[8:9]
	v_add_f64_e32 v[6:7], v[6:7], v[26:27]
	v_add_f64_e32 v[8:9], v[8:9], v[28:29]
	v_add_f64_e64 v[26:27], v[38:39], -v[50:51]
	v_add_f64_e32 v[6:7], v[6:7], v[30:31]
	s_delay_alu instid0(VALU_DEP_3) | instskip(NEXT) | instid1(VALU_DEP_3)
	v_add_f64_e32 v[8:9], v[8:9], v[36:37]
	v_add_f64_e32 v[14:15], v[14:15], v[26:27]
	v_add_f64_e64 v[36:37], v[148:149], -v[178:179]
	s_delay_alu instid0(VALU_DEP_4) | instskip(NEXT) | instid1(VALU_DEP_4)
	v_add_f64_e32 v[6:7], v[6:7], v[38:39]
	v_add_f64_e32 v[8:9], v[8:9], v[48:49]
	v_add_f64_e64 v[38:39], v[46:47], -v[0:1]
	s_delay_alu instid0(VALU_DEP_3) | instskip(NEXT) | instid1(VALU_DEP_3)
	v_add_f64_e32 v[20:21], v[6:7], v[50:51]
	v_add_f64_e32 v[22:23], v[8:9], v[92:93]
	v_add_f64_e64 v[6:7], v[48:49], -v[92:93]
	v_fma_f64 v[8:9], v[24:25], s[18:19], v[10:11]
	v_fma_f64 v[10:11], v[24:25], s[16:17], v[10:11]
	;; [unrolled: 1-line block ×4, first 2 shown]
	ds_load_b128 v[48:51], v40 offset:4000
	v_add_f64_e32 v[6:7], v[16:17], v[6:7]
	v_fma_f64 v[8:9], v[18:19], s[12:13], v[8:9]
	v_fma_f64 v[10:11], v[18:19], s[14:15], v[10:11]
	;; [unrolled: 1-line block ×4, first 2 shown]
	s_delay_alu instid0(VALU_DEP_4) | instskip(SKIP_1) | instid1(VALU_DEP_4)
	v_fma_f64 v[96:97], v[14:15], s[20:21], v[8:9]
	v_add_f64_e64 v[8:9], v[0:1], -v[2:3]
	v_fma_f64 v[98:99], v[6:7], s[20:21], v[16:17]
	s_delay_alu instid0(VALU_DEP_4)
	v_fma_f64 v[94:95], v[6:7], s[20:21], v[12:13]
	v_add_f64_e64 v[6:7], v[46:47], -v[44:45]
	v_fma_f64 v[92:93], v[14:15], s[20:21], v[10:11]
	v_add_f64_e64 v[10:11], v[42:43], -v[178:179]
	v_add_f64_e32 v[12:13], v[148:149], v[178:179]
	v_add_f64_e64 v[14:15], v[4:5], -v[42:43]
	v_add_f64_e32 v[6:7], v[6:7], v[8:9]
	v_add_f64_e64 v[8:9], v[4:5], -v[148:149]
	s_wait_dscnt 0x0
	s_delay_alu instid0(VALU_DEP_4) | instskip(NEXT) | instid1(VALU_DEP_2)
	v_fma_f64 v[12:13], v[12:13], -0.5, v[50:51]
	v_add_f64_e32 v[8:9], v[8:9], v[10:11]
	v_add_f64_e32 v[10:11], v[44:45], v[2:3]
	s_delay_alu instid0(VALU_DEP_3) | instskip(SKIP_1) | instid1(VALU_DEP_3)
	v_fma_f64 v[18:19], v[38:39], s[18:19], v[12:13]
	v_fma_f64 v[12:13], v[38:39], s[16:17], v[12:13]
	v_fma_f64 v[10:11], v[10:11], -0.5, v[48:49]
	s_delay_alu instid0(VALU_DEP_3) | instskip(NEXT) | instid1(VALU_DEP_3)
	v_fma_f64 v[18:19], v[128:129], s[14:15], v[18:19]
	v_fma_f64 v[12:13], v[128:129], s[12:13], v[12:13]
	s_delay_alu instid0(VALU_DEP_3) | instskip(SKIP_1) | instid1(VALU_DEP_3)
	v_fma_f64 v[16:17], v[14:15], s[16:17], v[10:11]
	v_fma_f64 v[10:11], v[14:15], s[18:19], v[10:11]
	v_fma_f64 v[26:27], v[8:9], s[20:21], v[12:13]
	v_add_f64_e32 v[12:13], v[50:51], v[4:5]
	v_fma_f64 v[30:31], v[8:9], s[20:21], v[18:19]
	v_add_f64_e32 v[8:9], v[4:5], v[42:43]
	v_add_f64_e64 v[4:5], v[148:149], -v[4:5]
	v_fma_f64 v[16:17], v[36:37], s[12:13], v[16:17]
	v_fma_f64 v[10:11], v[36:37], s[14:15], v[10:11]
	v_add_f64_e32 v[12:13], v[12:13], v[148:149]
	v_fma_f64 v[8:9], v[8:9], -0.5, v[50:51]
	v_add_f64_e64 v[50:51], v[80:81], -v[254:255]
	v_fma_f64 v[28:29], v[6:7], s[20:21], v[16:17]
	v_fma_f64 v[24:25], v[6:7], s[20:21], v[10:11]
	v_add_f64_e32 v[10:11], v[48:49], v[46:47]
	v_add_f64_e32 v[6:7], v[46:47], v[0:1]
	;; [unrolled: 1-line block ×3, first 2 shown]
	v_add_f64_e64 v[46:47], v[44:45], -v[46:47]
	s_delay_alu instid0(VALU_DEP_4) | instskip(NEXT) | instid1(VALU_DEP_4)
	v_add_f64_e32 v[10:11], v[10:11], v[44:45]
	v_fma_f64 v[6:7], v[6:7], -0.5, v[48:49]
	s_delay_alu instid0(VALU_DEP_4)
	v_add_f64_e32 v[18:19], v[12:13], v[42:43]
	v_fma_f64 v[12:13], v[128:129], s[16:17], v[8:9]
	v_fma_f64 v[8:9], v[128:129], s[18:19], v[8:9]
	v_add_f64_e64 v[128:129], v[84:85], -v[86:87]
	v_add_f64_e32 v[10:11], v[10:11], v[2:3]
	v_add_f64_e64 v[2:3], v[2:3], -v[0:1]
	s_delay_alu instid0(VALU_DEP_4) | instskip(NEXT) | instid1(VALU_DEP_3)
	v_fma_f64 v[8:9], v[38:39], s[12:13], v[8:9]
	v_add_f64_e32 v[16:17], v[10:11], v[0:1]
	v_add_f64_e64 v[0:1], v[178:179], -v[42:43]
	v_fma_f64 v[10:11], v[36:37], s[18:19], v[6:7]
	v_fma_f64 v[6:7], v[36:37], s[16:17], v[6:7]
	v_add_f64_e32 v[2:3], v[46:47], v[2:3]
	s_delay_alu instid0(VALU_DEP_4) | instskip(NEXT) | instid1(VALU_DEP_4)
	v_add_f64_e32 v[0:1], v[4:5], v[0:1]
	v_fma_f64 v[4:5], v[14:15], s[12:13], v[10:11]
	s_delay_alu instid0(VALU_DEP_4) | instskip(SKIP_1) | instid1(VALU_DEP_4)
	v_fma_f64 v[6:7], v[14:15], s[14:15], v[6:7]
	v_fma_f64 v[10:11], v[38:39], s[14:15], v[12:13]
	;; [unrolled: 1-line block ×3, first 2 shown]
	s_delay_alu instid0(VALU_DEP_4) | instskip(NEXT) | instid1(VALU_DEP_4)
	v_fma_f64 v[42:43], v[2:3], s[20:21], v[4:5]
	v_fma_f64 v[46:47], v[2:3], s[20:21], v[6:7]
	s_delay_alu instid0(VALU_DEP_4) | instskip(SKIP_4) | instid1(VALU_DEP_3)
	v_fma_f64 v[44:45], v[0:1], s[20:21], v[10:11]
	v_add_f64_e64 v[0:1], v[82:83], -v[88:89]
	v_add_f64_e64 v[2:3], v[216:217], -v[90:91]
	v_add_f64_e32 v[8:9], v[88:89], v[90:91]
	v_add_f64_e32 v[10:11], v[84:85], v[86:87]
	;; [unrolled: 1-line block ×3, first 2 shown]
	v_add_f64_e64 v[0:1], v[80:81], -v[84:85]
	v_add_f64_e64 v[2:3], v[254:255], -v[86:87]
	s_delay_alu instid0(VALU_DEP_1) | instskip(SKIP_4) | instid1(VALU_DEP_2)
	v_add_f64_e32 v[6:7], v[0:1], v[2:3]
	ds_load_b128 v[0:3], v40 offset:6000
	s_wait_dscnt 0x0
	v_fma_f64 v[8:9], v[8:9], -0.5, v[0:1]
	v_fma_f64 v[10:11], v[10:11], -0.5, v[2:3]
	v_fma_f64 v[12:13], v[50:51], s[16:17], v[8:9]
	s_delay_alu instid0(VALU_DEP_2) | instskip(SKIP_2) | instid1(VALU_DEP_4)
	v_fma_f64 v[14:15], v[130:131], s[18:19], v[10:11]
	v_fma_f64 v[8:9], v[50:51], s[18:19], v[8:9]
	;; [unrolled: 1-line block ×4, first 2 shown]
	s_delay_alu instid0(VALU_DEP_4) | instskip(NEXT) | instid1(VALU_DEP_4)
	v_fma_f64 v[14:15], v[132:133], s[14:15], v[14:15]
	v_fma_f64 v[8:9], v[128:129], s[14:15], v[8:9]
	s_delay_alu instid0(VALU_DEP_4) | instskip(NEXT) | instid1(VALU_DEP_4)
	v_fma_f64 v[10:11], v[132:133], s[12:13], v[10:11]
	v_fma_f64 v[36:37], v[4:5], s[20:21], v[12:13]
	;; [unrolled: 3-line block ×3, first 2 shown]
	s_delay_alu instid0(VALU_DEP_4) | instskip(SKIP_2) | instid1(VALU_DEP_2)
	v_fma_f64 v[14:15], v[6:7], s[20:21], v[10:11]
	v_add_f64_e32 v[4:5], v[82:83], v[216:217]
	v_add_f64_e32 v[6:7], v[80:81], v[254:255]
	v_fma_f64 v[4:5], v[4:5], -0.5, v[0:1]
	s_delay_alu instid0(VALU_DEP_2) | instskip(SKIP_4) | instid1(VALU_DEP_4)
	v_fma_f64 v[6:7], v[6:7], -0.5, v[2:3]
	v_add_f64_e32 v[0:1], v[0:1], v[82:83]
	v_add_f64_e32 v[2:3], v[2:3], v[80:81]
	v_add_f64_e64 v[82:83], v[88:89], -v[82:83]
	v_add_f64_e64 v[80:81], v[84:85], -v[80:81]
	v_add_f64_e32 v[0:1], v[0:1], v[88:89]
	s_delay_alu instid0(VALU_DEP_4) | instskip(SKIP_1) | instid1(VALU_DEP_3)
	v_add_f64_e32 v[2:3], v[2:3], v[84:85]
	v_add_f64_e64 v[84:85], v[90:91], -v[216:217]
	v_add_f64_e32 v[0:1], v[0:1], v[90:91]
	s_delay_alu instid0(VALU_DEP_3) | instskip(NEXT) | instid1(VALU_DEP_3)
	v_add_f64_e32 v[2:3], v[2:3], v[86:87]
	v_add_f64_e32 v[84:85], v[82:83], v[84:85]
	ds_load_b128 v[88:91], v40 offset:8000
	v_add_f64_e32 v[8:9], v[0:1], v[216:217]
	v_add_f64_e32 v[10:11], v[2:3], v[254:255]
	v_add_f64_e64 v[0:1], v[86:87], -v[254:255]
	v_fma_f64 v[2:3], v[128:129], s[18:19], v[4:5]
	v_fma_f64 v[4:5], v[128:129], s[16:17], v[4:5]
	v_fma_f64 v[86:87], v[132:133], s[16:17], v[6:7]
	v_fma_f64 v[6:7], v[132:133], s[18:19], v[6:7]
	v_add_f64_e64 v[128:129], v[68:69], -v[70:71]
	v_add_f64_e64 v[132:133], v[66:67], -v[76:77]
	v_add_f64_e32 v[0:1], v[80:81], v[0:1]
	v_fma_f64 v[2:3], v[50:51], s[12:13], v[2:3]
	v_fma_f64 v[4:5], v[50:51], s[14:15], v[4:5]
	;; [unrolled: 1-line block ×4, first 2 shown]
	s_delay_alu instid0(VALU_DEP_4) | instskip(SKIP_1) | instid1(VALU_DEP_4)
	v_fma_f64 v[80:81], v[84:85], s[20:21], v[2:3]
	v_add_f64_e64 v[2:3], v[76:77], -v[72:73]
	v_fma_f64 v[82:83], v[0:1], s[20:21], v[50:51]
	s_delay_alu instid0(VALU_DEP_4)
	v_fma_f64 v[86:87], v[0:1], s[20:21], v[6:7]
	v_add_f64_e64 v[0:1], v[66:67], -v[74:75]
	v_fma_f64 v[84:85], v[84:85], s[20:21], v[4:5]
	v_add_f64_e64 v[4:5], v[78:79], -v[70:71]
	v_add_f64_e32 v[6:7], v[68:69], v[70:71]
	v_add_f64_e64 v[50:51], v[64:65], -v[78:79]
	v_add_f64_e32 v[0:1], v[0:1], v[2:3]
	v_add_f64_e64 v[2:3], v[64:65], -v[68:69]
	s_wait_dscnt 0x0
	s_delay_alu instid0(VALU_DEP_4) | instskip(NEXT) | instid1(VALU_DEP_2)
	v_fma_f64 v[6:7], v[6:7], -0.5, v[90:91]
	v_add_f64_e32 v[2:3], v[2:3], v[4:5]
	v_add_f64_e32 v[4:5], v[74:75], v[72:73]
	s_delay_alu instid0(VALU_DEP_3) | instskip(SKIP_1) | instid1(VALU_DEP_3)
	v_fma_f64 v[136:137], v[132:133], s[18:19], v[6:7]
	v_fma_f64 v[6:7], v[132:133], s[16:17], v[6:7]
	v_fma_f64 v[4:5], v[4:5], -0.5, v[88:89]
	s_delay_alu instid0(VALU_DEP_3) | instskip(NEXT) | instid1(VALU_DEP_3)
	v_fma_f64 v[136:137], v[134:135], s[14:15], v[136:137]
	v_fma_f64 v[6:7], v[134:135], s[12:13], v[6:7]
	s_delay_alu instid0(VALU_DEP_3) | instskip(SKIP_1) | instid1(VALU_DEP_4)
	v_fma_f64 v[130:131], v[50:51], s[16:17], v[4:5]
	v_fma_f64 v[4:5], v[50:51], s[18:19], v[4:5]
	;; [unrolled: 1-line block ×3, first 2 shown]
	s_delay_alu instid0(VALU_DEP_4) | instskip(SKIP_4) | instid1(VALU_DEP_4)
	v_fma_f64 v[6:7], v[2:3], s[20:21], v[6:7]
	v_add_f64_e32 v[2:3], v[64:65], v[78:79]
	v_add_f64_e64 v[136:137], v[34:35], -v[60:61]
	v_fma_f64 v[130:131], v[128:129], s[12:13], v[130:131]
	v_fma_f64 v[4:5], v[128:129], s[14:15], v[4:5]
	v_fma_f64 v[2:3], v[2:3], -0.5, v[90:91]
	v_add_f64_e32 v[90:91], v[90:91], v[64:65]
	s_delay_alu instid0(VALU_DEP_4) | instskip(NEXT) | instid1(VALU_DEP_4)
	v_fma_f64 v[176:177], v[0:1], s[20:21], v[130:131]
	v_fma_f64 v[4:5], v[0:1], s[20:21], v[4:5]
	v_add_f64_e32 v[0:1], v[66:67], v[76:77]
	v_add_f64_e64 v[130:131], v[74:75], -v[66:67]
	s_delay_alu instid0(VALU_DEP_2) | instskip(SKIP_1) | instid1(VALU_DEP_1)
	v_fma_f64 v[0:1], v[0:1], -0.5, v[88:89]
	v_add_f64_e32 v[88:89], v[88:89], v[66:67]
	v_add_f64_e32 v[66:67], v[88:89], v[74:75]
	;; [unrolled: 1-line block ×3, first 2 shown]
	v_add_f64_e64 v[68:69], v[68:69], -v[64:65]
	v_add_f64_e32 v[88:89], v[32:33], v[62:63]
	s_delay_alu instid0(VALU_DEP_4) | instskip(NEXT) | instid1(VALU_DEP_4)
	v_add_f64_e32 v[64:65], v[66:67], v[72:73]
	v_add_f64_e32 v[66:67], v[74:75], v[70:71]
	v_add_f64_e64 v[72:73], v[72:73], -v[76:77]
	v_add_f64_e64 v[70:71], v[70:71], -v[78:79]
	v_fma_f64 v[74:75], v[128:129], s[18:19], v[0:1]
	v_fma_f64 v[0:1], v[128:129], s[16:17], v[0:1]
	v_add_f64_e32 v[64:65], v[64:65], v[76:77]
	v_fma_f64 v[76:77], v[134:135], s[16:17], v[2:3]
	v_fma_f64 v[2:3], v[134:135], s[18:19], v[2:3]
	v_add_f64_e32 v[66:67], v[66:67], v[78:79]
	v_add_f64_e32 v[72:73], v[130:131], v[72:73]
	;; [unrolled: 1-line block ×3, first 2 shown]
	v_fma_f64 v[68:69], v[50:51], s[12:13], v[74:75]
	v_fma_f64 v[0:1], v[50:51], s[14:15], v[0:1]
	v_add_f64_e64 v[130:131], v[54:55], -v[56:57]
	v_add_f64_e64 v[134:135], v[52:53], -v[58:59]
	v_fma_f64 v[50:51], v[132:133], s[14:15], v[76:77]
	v_fma_f64 v[2:3], v[132:133], s[12:13], v[2:3]
	v_add_f64_e64 v[132:133], v[32:33], -v[62:63]
	v_fma_f64 v[68:69], v[72:73], s[20:21], v[68:69]
	v_fma_f64 v[72:73], v[72:73], s[20:21], v[0:1]
	;; [unrolled: 3-line block ×3, first 2 shown]
	v_add_f64_e64 v[2:3], v[58:59], -v[60:61]
	v_add_f64_e64 v[50:51], v[56:57], -v[62:63]
	ds_load_b128 v[76:79], v40 offset:10000
	s_wait_dscnt 0x0
	v_fma_f64 v[128:129], v[88:89], -0.5, v[78:79]
	v_add_f64_e32 v[0:1], v[0:1], v[2:3]
	v_add_f64_e64 v[2:3], v[54:55], -v[32:33]
	s_delay_alu instid0(VALU_DEP_3) | instskip(SKIP_1) | instid1(VALU_DEP_3)
	v_fma_f64 v[90:91], v[134:135], s[16:17], v[128:129]
	v_fma_f64 v[128:129], v[134:135], s[18:19], v[128:129]
	v_add_f64_e32 v[2:3], v[2:3], v[50:51]
	v_add_f64_e32 v[50:51], v[34:35], v[60:61]
	s_delay_alu instid0(VALU_DEP_4) | instskip(NEXT) | instid1(VALU_DEP_4)
	v_fma_f64 v[90:91], v[136:137], s[14:15], v[90:91]
	v_fma_f64 v[128:129], v[136:137], s[12:13], v[128:129]
	s_delay_alu instid0(VALU_DEP_3) | instskip(NEXT) | instid1(VALU_DEP_3)
	v_fma_f64 v[50:51], v[50:51], -0.5, v[76:77]
	v_fma_f64 v[90:91], v[2:3], s[20:21], v[90:91]
	s_delay_alu instid0(VALU_DEP_3) | instskip(SKIP_1) | instid1(VALU_DEP_4)
	v_fma_f64 v[2:3], v[2:3], s[20:21], v[128:129]
	v_add_f64_e32 v[128:129], v[54:55], v[56:57]
	v_fma_f64 v[88:89], v[130:131], s[18:19], v[50:51]
	v_fma_f64 v[50:51], v[130:131], s[16:17], v[50:51]
	s_delay_alu instid0(VALU_DEP_3) | instskip(SKIP_1) | instid1(VALU_DEP_4)
	v_fma_f64 v[128:129], v[128:129], -0.5, v[78:79]
	v_add_f64_e32 v[78:79], v[78:79], v[32:33]
	v_fma_f64 v[88:89], v[132:133], s[12:13], v[88:89]
	s_delay_alu instid0(VALU_DEP_4) | instskip(NEXT) | instid1(VALU_DEP_2)
	v_fma_f64 v[50:51], v[132:133], s[14:15], v[50:51]
	v_fma_f64 v[88:89], v[0:1], s[20:21], v[88:89]
	s_delay_alu instid0(VALU_DEP_2) | instskip(SKIP_1) | instid1(VALU_DEP_1)
	v_fma_f64 v[0:1], v[0:1], s[20:21], v[50:51]
	v_add_f64_e32 v[50:51], v[52:53], v[58:59]
	v_fma_f64 v[50:51], v[50:51], -0.5, v[76:77]
	v_add_f64_e32 v[76:77], v[76:77], v[34:35]
	s_delay_alu instid0(VALU_DEP_1) | instskip(SKIP_2) | instid1(VALU_DEP_3)
	v_add_f64_e32 v[34:35], v[76:77], v[52:53]
	v_add_f64_e32 v[52:53], v[78:79], v[54:55]
	v_add_f64_e64 v[54:55], v[32:33], -v[54:55]
	v_add_f64_e32 v[32:33], v[34:35], v[58:59]
	s_delay_alu instid0(VALU_DEP_3)
	v_add_f64_e32 v[34:35], v[52:53], v[56:57]
	v_add_f64_e64 v[52:53], v[60:61], -v[58:59]
	v_add_f64_e64 v[56:57], v[62:63], -v[56:57]
	v_fma_f64 v[58:59], v[132:133], s[16:17], v[50:51]
	v_fma_f64 v[50:51], v[132:133], s[18:19], v[50:51]
	v_add_f64_e32 v[32:33], v[32:33], v[60:61]
	v_fma_f64 v[60:61], v[136:137], s[18:19], v[128:129]
	v_add_f64_e32 v[34:35], v[34:35], v[62:63]
	;; [unrolled: 2-line block ×3, first 2 shown]
	v_add_f64_e32 v[56:57], v[54:55], v[56:57]
	v_fma_f64 v[52:53], v[130:131], s[12:13], v[58:59]
	v_fma_f64 v[54:55], v[130:131], s[14:15], v[50:51]
	;; [unrolled: 1-line block ×4, first 2 shown]
	s_delay_alu instid0(VALU_DEP_4) | instskip(NEXT) | instid1(VALU_DEP_4)
	v_fma_f64 v[50:51], v[76:77], s[20:21], v[52:53]
	v_fma_f64 v[54:55], v[76:77], s[20:21], v[54:55]
	s_delay_alu instid0(VALU_DEP_4) | instskip(NEXT) | instid1(VALU_DEP_4)
	v_fma_f64 v[52:53], v[56:57], s[20:21], v[58:59]
	v_fma_f64 v[56:57], v[56:57], s[20:21], v[60:61]
	ds_store_b128 v40, v[100:103]
	ds_store_b128 v40, v[20:23] offset:2000
	ds_store_b128 v40, v[16:19] offset:4000
	;; [unrolled: 1-line block ×29, first 2 shown]
	global_wb scope:SCOPE_SE
	s_wait_storecnt_dscnt 0x0
	s_barrier_signal -1
	s_barrier_wait -1
	global_inv scope:SCOPE_SE
	global_load_b128 v[4:7], v40, s[8:9] offset:60000
	ds_load_b128 v[0:3], v40
	ds_load_b128 v[124:127], v40 offset:52000
	s_add_nc_u64 s[8:9], s[8:9], 0xea60
	ds_load_b128 v[14:17], v40 offset:40000
	ds_load_b128 v[32:35], v40 offset:42000
	global_load_b128 v[176:179], v40, s[8:9] offset:14000
	ds_load_b128 v[20:23], v40 offset:2000
	ds_load_b128 v[42:45], v40 offset:4000
	;; [unrolled: 1-line block ×16, first 2 shown]
	s_wait_loadcnt_dscnt 0x113
	v_mul_f64_e32 v[8:9], v[2:3], v[6:7]
	v_mul_f64_e32 v[6:7], v[0:1], v[6:7]
	s_delay_alu instid0(VALU_DEP_2) | instskip(NEXT) | instid1(VALU_DEP_2)
	v_fma_f64 v[148:149], v[0:1], v[4:5], -v[8:9]
	v_fma_f64 v[150:151], v[2:3], v[4:5], v[6:7]
	global_load_b128 v[4:7], v40, s[8:9] offset:20000
	ds_load_b128 v[8:11], v40 offset:20000
	s_wait_loadcnt_dscnt 0x0
	v_mul_f64_e32 v[2:3], v[8:9], v[6:7]
	v_mul_f64_e32 v[0:1], v[10:11], v[6:7]
	s_delay_alu instid0(VALU_DEP_2)
	v_fma_f64 v[146:147], v[10:11], v[4:5], v[2:3]
	global_load_b128 v[10:13], v40, s[8:9] offset:40000
	v_fma_f64 v[144:145], v[8:9], v[4:5], -v[0:1]
	s_wait_loadcnt 0x0
	v_mul_f64_e32 v[2:3], v[14:15], v[12:13]
	v_mul_f64_e32 v[0:1], v[16:17], v[12:13]
	s_delay_alu instid0(VALU_DEP_2)
	v_fma_f64 v[142:143], v[16:17], v[10:11], v[2:3]
	global_load_b128 v[16:19], v40, s[8:9] offset:2000
	v_fma_f64 v[140:141], v[14:15], v[10:11], -v[0:1]
	global_load_b128 v[8:11], v40, s[8:9] offset:54000
	s_wait_loadcnt 0x1
	v_mul_f64_e32 v[2:3], v[20:21], v[18:19]
	v_mul_f64_e32 v[0:1], v[22:23], v[18:19]
	s_delay_alu instid0(VALU_DEP_2)
	v_fma_f64 v[138:139], v[22:23], v[16:17], v[2:3]
	global_load_b128 v[22:25], v40, s[8:9] offset:22000
	v_fma_f64 v[136:137], v[20:21], v[16:17], -v[0:1]
	s_wait_loadcnt 0x0
	v_mul_f64_e32 v[2:3], v[26:27], v[24:25]
	v_mul_f64_e32 v[0:1], v[28:29], v[24:25]
	s_delay_alu instid0(VALU_DEP_2)
	v_fma_f64 v[134:135], v[28:29], v[22:23], v[2:3]
	global_load_b128 v[28:31], v40, s[8:9] offset:42000
	v_fma_f64 v[132:133], v[26:27], v[22:23], -v[0:1]
	ds_load_b128 v[20:23], v40 offset:56000
	s_wait_loadcnt 0x0
	v_mul_f64_e32 v[2:3], v[32:33], v[30:31]
	v_mul_f64_e32 v[0:1], v[34:35], v[30:31]
	s_delay_alu instid0(VALU_DEP_2)
	v_fma_f64 v[130:131], v[34:35], v[28:29], v[2:3]
	global_load_b128 v[34:37], v40, s[8:9] offset:4000
	v_fma_f64 v[128:129], v[32:33], v[28:29], -v[0:1]
	s_wait_loadcnt 0x0
	v_mul_f64_e32 v[0:1], v[44:45], v[36:37]
	v_mul_f64_e32 v[2:3], v[42:43], v[36:37]
	s_delay_alu instid0(VALU_DEP_2) | instskip(NEXT) | instid1(VALU_DEP_2)
	v_fma_f64 v[36:37], v[42:43], v[34:35], -v[0:1]
	v_fma_f64 v[38:39], v[44:45], v[34:35], v[2:3]
	global_load_b128 v[42:45], v40, s[8:9] offset:24000
	s_wait_loadcnt 0x0
	v_mul_f64_e32 v[0:1], v[48:49], v[44:45]
	v_mul_f64_e32 v[2:3], v[46:47], v[44:45]
	s_delay_alu instid0(VALU_DEP_2) | instskip(NEXT) | instid1(VALU_DEP_2)
	v_fma_f64 v[44:45], v[46:47], v[42:43], -v[0:1]
	v_fma_f64 v[46:47], v[48:49], v[42:43], v[2:3]
	global_load_b128 v[48:51], v40, s[8:9] offset:44000
	;; [unrolled: 7-line block ×14, first 2 shown]
	s_wait_loadcnt 0x0
	v_mul_f64_e32 v[0:1], v[126:127], v[122:123]
	v_mul_f64_e32 v[2:3], v[124:125], v[122:123]
	s_delay_alu instid0(VALU_DEP_2) | instskip(NEXT) | instid1(VALU_DEP_2)
	v_fma_f64 v[122:123], v[124:125], v[120:121], -v[0:1]
	v_fma_f64 v[124:125], v[126:127], v[120:121], v[2:3]
	ds_load_b128 v[0:3], v40 offset:14000
	s_wait_dscnt 0x0
	v_mul_f64_e32 v[4:5], v[2:3], v[178:179]
	v_mul_f64_e32 v[6:7], v[0:1], v[178:179]
	s_delay_alu instid0(VALU_DEP_2) | instskip(NEXT) | instid1(VALU_DEP_2)
	v_fma_f64 v[28:29], v[0:1], v[176:177], -v[4:5]
	v_fma_f64 v[30:31], v[2:3], v[176:177], v[6:7]
	global_load_b128 v[176:179], v40, s[8:9] offset:34000
	ds_load_b128 v[0:3], v40 offset:34000
	s_wait_loadcnt_dscnt 0x0
	v_mul_f64_e32 v[4:5], v[2:3], v[178:179]
	v_mul_f64_e32 v[6:7], v[0:1], v[178:179]
	s_delay_alu instid0(VALU_DEP_2) | instskip(NEXT) | instid1(VALU_DEP_2)
	v_fma_f64 v[24:25], v[0:1], v[176:177], -v[4:5]
	v_fma_f64 v[26:27], v[2:3], v[176:177], v[6:7]
	ds_load_b128 v[176:179], v40 offset:54000
	s_wait_dscnt 0x0
	v_mul_f64_e32 v[0:1], v[178:179], v[10:11]
	v_mul_f64_e32 v[2:3], v[176:177], v[10:11]
	s_delay_alu instid0(VALU_DEP_2) | instskip(NEXT) | instid1(VALU_DEP_2)
	v_fma_f64 v[176:177], v[176:177], v[8:9], -v[0:1]
	v_fma_f64 v[178:179], v[178:179], v[8:9], v[2:3]
	global_load_b128 v[8:11], v40, s[8:9] offset:16000
	ds_load_b128 v[0:3], v40 offset:16000
	s_wait_loadcnt_dscnt 0x0
	v_mul_f64_e32 v[4:5], v[2:3], v[10:11]
	v_mul_f64_e32 v[6:7], v[0:1], v[10:11]
	s_delay_alu instid0(VALU_DEP_2) | instskip(NEXT) | instid1(VALU_DEP_2)
	v_fma_f64 v[16:17], v[0:1], v[8:9], -v[4:5]
	v_fma_f64 v[18:19], v[2:3], v[8:9], v[6:7]
	global_load_b128 v[8:11], v40, s[8:9] offset:36000
	ds_load_b128 v[0:3], v40 offset:36000
	s_wait_loadcnt_dscnt 0x0
	v_mul_f64_e32 v[4:5], v[2:3], v[10:11]
	v_mul_f64_e32 v[6:7], v[0:1], v[10:11]
	s_delay_alu instid0(VALU_DEP_2) | instskip(NEXT) | instid1(VALU_DEP_2)
	v_fma_f64 v[12:13], v[0:1], v[8:9], -v[4:5]
	v_fma_f64 v[14:15], v[2:3], v[8:9], v[6:7]
	global_load_b128 v[8:11], v40, s[8:9] offset:56000
	s_wait_loadcnt 0x0
	v_mul_f64_e32 v[0:1], v[22:23], v[10:11]
	v_mul_f64_e32 v[2:3], v[20:21], v[10:11]
	s_delay_alu instid0(VALU_DEP_2) | instskip(NEXT) | instid1(VALU_DEP_2)
	v_fma_f64 v[20:21], v[20:21], v[8:9], -v[0:1]
	v_fma_f64 v[22:23], v[22:23], v[8:9], v[2:3]
	global_load_b128 v[8:11], v40, s[8:9] offset:18000
	ds_load_b128 v[0:3], v40 offset:18000
	s_wait_loadcnt_dscnt 0x0
	v_mul_f64_e32 v[4:5], v[2:3], v[10:11]
	v_mul_f64_e32 v[6:7], v[0:1], v[10:11]
	s_delay_alu instid0(VALU_DEP_2) | instskip(NEXT) | instid1(VALU_DEP_2)
	v_fma_f64 v[4:5], v[0:1], v[8:9], -v[4:5]
	v_fma_f64 v[6:7], v[2:3], v[8:9], v[6:7]
	global_load_b128 v[8:11], v40, s[8:9] offset:38000
	ds_load_b128 v[0:3], v40 offset:38000
	s_wait_loadcnt_dscnt 0x0
	;; [unrolled: 8-line block ×3, first 2 shown]
	v_mul_f64_e32 v[42:43], v[34:35], v[10:11]
	v_mul_f64_e32 v[10:11], v[32:33], v[10:11]
	s_delay_alu instid0(VALU_DEP_2) | instskip(NEXT) | instid1(VALU_DEP_2)
	v_fma_f64 v[32:33], v[32:33], v[8:9], -v[42:43]
	v_fma_f64 v[34:35], v[34:35], v[8:9], v[10:11]
	ds_store_b128 v40, v[148:151]
	ds_store_b128 v40, v[144:147] offset:20000
	ds_store_b128 v40, v[140:143] offset:40000
	;; [unrolled: 1-line block ×29, first 2 shown]
	global_wb scope:SCOPE_SE
	s_wait_dscnt 0x0
	s_barrier_signal -1
	s_barrier_wait -1
	global_inv scope:SCOPE_SE
	ds_load_b128 v[0:3], v40
	ds_load_b128 v[4:7], v40 offset:20000
	ds_load_b128 v[8:11], v40 offset:40000
	s_wait_dscnt 0x1
	v_add_f64_e32 v[12:13], v[0:1], v[4:5]
	v_add_f64_e32 v[14:15], v[2:3], v[6:7]
	s_wait_dscnt 0x0
	v_add_f64_e32 v[154:155], v[4:5], v[8:9]
	v_add_f64_e64 v[88:89], v[6:7], -v[10:11]
	v_add_f64_e32 v[152:153], v[6:7], v[10:11]
	v_add_f64_e64 v[92:93], v[4:5], -v[8:9]
	v_add_f64_e32 v[4:5], v[12:13], v[8:9]
	v_add_f64_e32 v[6:7], v[14:15], v[10:11]
	ds_load_b128 v[8:11], v40 offset:22000
	ds_load_b128 v[12:15], v40 offset:2000
	ds_load_b128 v[16:19], v40 offset:42000
	s_wait_dscnt 0x1
	v_add_f64_e32 v[20:21], v[12:13], v[8:9]
	v_add_f64_e32 v[22:23], v[14:15], v[10:11]
	s_wait_dscnt 0x0
	v_add_f64_e32 v[94:95], v[8:9], v[16:17]
	v_add_f64_e64 v[96:97], v[10:11], -v[18:19]
	v_add_f64_e32 v[98:99], v[10:11], v[18:19]
	v_add_f64_e64 v[100:101], v[8:9], -v[16:17]
	v_add_f64_e32 v[8:9], v[20:21], v[16:17]
	v_add_f64_e32 v[10:11], v[22:23], v[18:19]
	ds_load_b128 v[16:19], v40 offset:4000
	;; [unrolled: 13-line block ×9, first 2 shown]
	ds_load_b128 v[78:81], v40 offset:38000
	ds_load_b128 v[82:85], v40 offset:58000
	global_wb scope:SCOPE_SE
	s_wait_dscnt 0x0
	s_barrier_signal -1
	s_barrier_wait -1
	global_inv scope:SCOPE_SE
	v_add_f64_e32 v[216:217], v[74:75], v[78:79]
	v_add_f64_e32 v[90:91], v[78:79], v[82:83]
	v_add_f64_e64 v[168:169], v[78:79], -v[82:83]
	v_add_f64_e32 v[254:255], v[76:77], v[80:81]
	v_add_f64_e64 v[170:171], v[80:81], -v[84:85]
	v_add_f64_e32 v[86:87], v[80:81], v[84:85]
	v_add_f64_e32 v[78:79], v[216:217], v[82:83]
	v_fma_f64 v[82:83], v[154:155], -0.5, v[0:1]
	v_add_f64_e32 v[80:81], v[254:255], v[84:85]
	v_fma_f64 v[84:85], v[152:153], -0.5, v[2:3]
	s_delay_alu instid0(VALU_DEP_3)
	v_fma_f64 v[0:1], v[88:89], s[24:25], v[82:83]
	v_fma_f64 v[82:83], v[88:89], s[22:23], v[82:83]
	scratch_load_b32 v88, off, off offset:960 th:TH_LOAD_LU ; 4-byte Folded Reload
	v_fma_f64 v[2:3], v[92:93], s[22:23], v[84:85]
	v_fma_f64 v[84:85], v[92:93], s[24:25], v[84:85]
	s_wait_loadcnt 0x0
	ds_store_b128 v88, v[4:7]
	ds_store_b128 v88, v[0:3] offset:16
	ds_store_b128 v88, v[82:85] offset:32
	v_fma_f64 v[2:3], v[94:95], -0.5, v[12:13]
	scratch_load_b32 v12, off, off offset:1048 th:TH_LOAD_LU ; 4-byte Folded Reload
	v_fma_f64 v[6:7], v[98:99], -0.5, v[14:15]
	v_fma_f64 v[0:1], v[96:97], s[24:25], v[2:3]
	v_fma_f64 v[4:5], v[96:97], s[22:23], v[2:3]
	s_delay_alu instid0(VALU_DEP_3)
	v_fma_f64 v[2:3], v[100:101], s[22:23], v[6:7]
	v_fma_f64 v[6:7], v[100:101], s[24:25], v[6:7]
	s_wait_loadcnt 0x0
	ds_store_b128 v12, v[8:11]
	ds_store_b128 v12, v[0:3] offset:16
	ds_store_b128 v12, v[4:7] offset:32
	scratch_load_b32 v8, off, off offset:1040 th:TH_LOAD_LU ; 4-byte Folded Reload
	v_fma_f64 v[2:3], v[102:103], -0.5, v[16:17]
	v_fma_f64 v[6:7], v[106:107], -0.5, v[18:19]
	s_delay_alu instid0(VALU_DEP_2) | instskip(SKIP_1) | instid1(VALU_DEP_3)
	v_fma_f64 v[0:1], v[104:105], s[24:25], v[2:3]
	v_fma_f64 v[4:5], v[104:105], s[22:23], v[2:3]
	v_fma_f64 v[2:3], v[108:109], s[22:23], v[6:7]
	v_fma_f64 v[6:7], v[108:109], s[24:25], v[6:7]
	s_wait_loadcnt 0x0
	ds_store_b128 v8, v[20:23]
	ds_store_b128 v8, v[0:3] offset:16
	ds_store_b128 v8, v[4:7] offset:32
	scratch_load_b32 v8, off, off offset:1036 th:TH_LOAD_LU ; 4-byte Folded Reload
	v_fma_f64 v[2:3], v[110:111], -0.5, v[28:29]
	v_fma_f64 v[6:7], v[114:115], -0.5, v[30:31]
	s_delay_alu instid0(VALU_DEP_2) | instskip(SKIP_1) | instid1(VALU_DEP_3)
	v_fma_f64 v[0:1], v[112:113], s[24:25], v[2:3]
	v_fma_f64 v[4:5], v[112:113], s[22:23], v[2:3]
	;; [unrolled: 12-line block ×8, first 2 shown]
	v_fma_f64 v[2:3], v[168:169], s[22:23], v[6:7]
	v_fma_f64 v[6:7], v[168:169], s[24:25], v[6:7]
	s_wait_loadcnt 0x0
	ds_store_b128 v8, v[78:81]
	ds_store_b128 v8, v[0:3] offset:16
	ds_store_b128 v8, v[4:7] offset:32
	global_wb scope:SCOPE_SE
	s_wait_dscnt 0x0
	s_barrier_signal -1
	s_barrier_wait -1
	global_inv scope:SCOPE_SE
	s_clause 0x3
	scratch_load_b128 v[6:9], off, off offset:492 th:TH_LOAD_LU
	scratch_load_b128 v[10:13], off, off offset:508 th:TH_LOAD_LU
	scratch_load_b128 v[14:17], off, off offset:524 th:TH_LOAD_LU
	scratch_load_b128 v[18:21], off, off offset:540 th:TH_LOAD_LU
	ds_load_b128 v[0:3], v40 offset:12000
	s_clause 0x4
	scratch_load_b128 v[24:27], off, off offset:572 th:TH_LOAD_LU
	scratch_load_b128 v[30:33], off, off offset:636 th:TH_LOAD_LU
	;; [unrolled: 1-line block ×5, first 2 shown]
	s_wait_loadcnt_dscnt 0x800
	v_mul_f64_e32 v[4:5], v[8:9], v[2:3]
	s_delay_alu instid0(VALU_DEP_1) | instskip(SKIP_1) | instid1(VALU_DEP_1)
	v_fma_f64 v[4:5], v[6:7], v[0:1], v[4:5]
	v_mul_f64_e32 v[0:1], v[8:9], v[0:1]
	v_fma_f64 v[6:7], v[6:7], v[2:3], -v[0:1]
	ds_load_b128 v[0:3], v40 offset:24000
	s_wait_loadcnt_dscnt 0x700
	v_mul_f64_e32 v[8:9], v[12:13], v[2:3]
	s_delay_alu instid0(VALU_DEP_1) | instskip(SKIP_1) | instid1(VALU_DEP_1)
	v_fma_f64 v[8:9], v[10:11], v[0:1], v[8:9]
	v_mul_f64_e32 v[0:1], v[12:13], v[0:1]
	v_fma_f64 v[10:11], v[10:11], v[2:3], -v[0:1]
	ds_load_b128 v[0:3], v40 offset:36000
	s_wait_loadcnt_dscnt 0x600
	v_mul_f64_e32 v[12:13], v[16:17], v[2:3]
	s_delay_alu instid0(VALU_DEP_1) | instskip(SKIP_1) | instid1(VALU_DEP_2)
	v_fma_f64 v[12:13], v[14:15], v[0:1], v[12:13]
	v_mul_f64_e32 v[0:1], v[16:17], v[0:1]
	v_add_f64_e64 v[114:115], v[8:9], -v[12:13]
	s_delay_alu instid0(VALU_DEP_2) | instskip(SKIP_4) | instid1(VALU_DEP_2)
	v_fma_f64 v[14:15], v[14:15], v[2:3], -v[0:1]
	ds_load_b128 v[0:3], v40 offset:48000
	s_wait_loadcnt_dscnt 0x500
	v_mul_f64_e32 v[16:17], v[20:21], v[2:3]
	v_add_f64_e64 v[110:111], v[10:11], -v[14:15]
	v_fma_f64 v[102:103], v[18:19], v[0:1], v[16:17]
	v_mul_f64_e32 v[0:1], v[20:21], v[0:1]
	s_delay_alu instid0(VALU_DEP_2) | instskip(NEXT) | instid1(VALU_DEP_2)
	v_add_f64_e64 v[116:117], v[4:5], -v[102:103]
	v_fma_f64 v[106:107], v[18:19], v[2:3], -v[0:1]
	scratch_load_b128 v[18:21], off, off offset:556 th:TH_LOAD_LU ; 16-byte Folded Reload
	ds_load_b128 v[0:3], v40 offset:14000
	v_add_f64_e64 v[112:113], v[6:7], -v[106:107]
	s_wait_loadcnt_dscnt 0x0
	v_mul_f64_e32 v[16:17], v[20:21], v[2:3]
	s_delay_alu instid0(VALU_DEP_1) | instskip(SKIP_1) | instid1(VALU_DEP_1)
	v_fma_f64 v[74:75], v[18:19], v[0:1], v[16:17]
	v_mul_f64_e32 v[0:1], v[20:21], v[0:1]
	v_fma_f64 v[22:23], v[18:19], v[2:3], -v[0:1]
	ds_load_b128 v[0:3], v40 offset:26000
	s_wait_dscnt 0x0
	v_mul_f64_e32 v[16:17], v[26:27], v[2:3]
	s_delay_alu instid0(VALU_DEP_1) | instskip(SKIP_1) | instid1(VALU_DEP_1)
	v_fma_f64 v[20:21], v[24:25], v[0:1], v[16:17]
	v_mul_f64_e32 v[0:1], v[26:27], v[0:1]
	v_fma_f64 v[78:79], v[24:25], v[2:3], -v[0:1]
	scratch_load_b128 v[24:27], off, off offset:588 th:TH_LOAD_LU ; 16-byte Folded Reload
	ds_load_b128 v[0:3], v40 offset:38000
	s_wait_loadcnt_dscnt 0x0
	v_mul_f64_e32 v[16:17], v[26:27], v[2:3]
	s_delay_alu instid0(VALU_DEP_1) | instskip(SKIP_1) | instid1(VALU_DEP_1)
	v_fma_f64 v[82:83], v[24:25], v[0:1], v[16:17]
	v_mul_f64_e32 v[0:1], v[26:27], v[0:1]
	v_fma_f64 v[18:19], v[24:25], v[2:3], -v[0:1]
	scratch_load_b128 v[24:27], off, off offset:604 th:TH_LOAD_LU ; 16-byte Folded Reload
	ds_load_b128 v[0:3], v40 offset:50000
	s_wait_loadcnt_dscnt 0x0
	v_mul_f64_e32 v[16:17], v[26:27], v[2:3]
	s_delay_alu instid0(VALU_DEP_1)
	v_fma_f64 v[16:17], v[24:25], v[0:1], v[16:17]
	v_mul_f64_e32 v[0:1], v[26:27], v[0:1]
	scratch_load_b128 v[26:29], off, off offset:620 th:TH_LOAD_LU ; 16-byte Folded Reload
	v_fma_f64 v[86:87], v[24:25], v[2:3], -v[0:1]
	ds_load_b128 v[0:3], v40 offset:16000
	s_wait_loadcnt_dscnt 0x0
	v_mul_f64_e32 v[24:25], v[28:29], v[2:3]
	s_delay_alu instid0(VALU_DEP_1) | instskip(SKIP_1) | instid1(VALU_DEP_1)
	v_fma_f64 v[58:59], v[26:27], v[0:1], v[24:25]
	v_mul_f64_e32 v[0:1], v[28:29], v[0:1]
	v_fma_f64 v[28:29], v[26:27], v[2:3], -v[0:1]
	ds_load_b128 v[0:3], v40 offset:28000
	s_wait_dscnt 0x0
	v_mul_f64_e32 v[24:25], v[32:33], v[2:3]
	s_delay_alu instid0(VALU_DEP_1) | instskip(SKIP_1) | instid1(VALU_DEP_1)
	v_fma_f64 v[56:57], v[30:31], v[0:1], v[24:25]
	v_mul_f64_e32 v[0:1], v[32:33], v[0:1]
	v_fma_f64 v[70:71], v[30:31], v[2:3], -v[0:1]
	scratch_load_b128 v[30:33], off, off offset:652 th:TH_LOAD_LU ; 16-byte Folded Reload
	ds_load_b128 v[0:3], v40 offset:40000
	s_wait_loadcnt_dscnt 0x0
	v_mul_f64_e32 v[24:25], v[32:33], v[2:3]
	s_delay_alu instid0(VALU_DEP_1) | instskip(SKIP_1) | instid1(VALU_DEP_1)
	v_fma_f64 v[88:89], v[30:31], v[0:1], v[24:25]
	v_mul_f64_e32 v[0:1], v[32:33], v[0:1]
	v_fma_f64 v[26:27], v[30:31], v[2:3], -v[0:1]
	scratch_load_b128 v[30:33], off, off offset:668 th:TH_LOAD_LU ; 16-byte Folded Reload
	ds_load_b128 v[0:3], v40 offset:52000
	s_wait_loadcnt_dscnt 0x0
	v_mul_f64_e32 v[24:25], v[32:33], v[2:3]
	s_delay_alu instid0(VALU_DEP_1)
	v_fma_f64 v[24:25], v[30:31], v[0:1], v[24:25]
	v_mul_f64_e32 v[0:1], v[32:33], v[0:1]
	scratch_load_b128 v[32:35], off, off offset:684 th:TH_LOAD_LU ; 16-byte Folded Reload
	v_fma_f64 v[66:67], v[30:31], v[2:3], -v[0:1]
	ds_load_b128 v[0:3], v40 offset:18000
	s_wait_loadcnt_dscnt 0x0
	v_mul_f64_e32 v[30:31], v[34:35], v[2:3]
	s_delay_alu instid0(VALU_DEP_1)
	v_fma_f64 v[62:63], v[32:33], v[0:1], v[30:31]
	v_mul_f64_e32 v[0:1], v[34:35], v[0:1]
	scratch_load_b128 v[34:37], off, off offset:700 th:TH_LOAD_LU ; 16-byte Folded Reload
	v_fma_f64 v[32:33], v[32:33], v[2:3], -v[0:1]
	ds_load_b128 v[0:3], v40 offset:30000
	s_wait_loadcnt_dscnt 0x0
	v_mul_f64_e32 v[30:31], v[36:37], v[2:3]
	s_delay_alu instid0(VALU_DEP_1) | instskip(SKIP_1) | instid1(VALU_DEP_1)
	v_fma_f64 v[216:217], v[34:35], v[0:1], v[30:31]
	v_mul_f64_e32 v[0:1], v[36:37], v[0:1]
	v_fma_f64 v[254:255], v[34:35], v[2:3], -v[0:1]
	scratch_load_b128 v[34:37], off, off offset:716 th:TH_LOAD_LU ; 16-byte Folded Reload
	ds_load_b128 v[0:3], v40 offset:42000
	s_wait_loadcnt_dscnt 0x0
	v_mul_f64_e32 v[30:31], v[36:37], v[2:3]
	s_delay_alu instid0(VALU_DEP_1)
	v_fma_f64 v[60:61], v[34:35], v[0:1], v[30:31]
	v_mul_f64_e32 v[0:1], v[36:37], v[0:1]
	scratch_load_b128 v[36:39], off, off offset:732 th:TH_LOAD_LU ; 16-byte Folded Reload
	v_fma_f64 v[30:31], v[34:35], v[2:3], -v[0:1]
	ds_load_b128 v[0:3], v40 offset:54000
	s_wait_loadcnt_dscnt 0x0
	v_mul_f64_e32 v[34:35], v[38:39], v[2:3]
	s_delay_alu instid0(VALU_DEP_1) | instskip(SKIP_1) | instid1(VALU_DEP_1)
	v_fma_f64 v[68:69], v[36:37], v[0:1], v[34:35]
	v_mul_f64_e32 v[0:1], v[38:39], v[0:1]
	v_fma_f64 v[90:91], v[36:37], v[2:3], -v[0:1]
	scratch_load_b128 v[36:39], off, off offset:748 th:TH_LOAD_LU ; 16-byte Folded Reload
	ds_load_b128 v[0:3], v40 offset:20000
	s_wait_loadcnt_dscnt 0x0
	v_mul_f64_e32 v[34:35], v[38:39], v[2:3]
	s_delay_alu instid0(VALU_DEP_1) | instskip(SKIP_1) | instid1(VALU_DEP_1)
	v_fma_f64 v[34:35], v[36:37], v[0:1], v[34:35]
	v_mul_f64_e32 v[0:1], v[38:39], v[0:1]
	v_fma_f64 v[48:49], v[36:37], v[2:3], -v[0:1]
	ds_load_b128 v[0:3], v40 offset:32000
	s_wait_dscnt 0x0
	v_mul_f64_e32 v[36:37], v[44:45], v[2:3]
	s_delay_alu instid0(VALU_DEP_1)
	v_fma_f64 v[38:39], v[42:43], v[0:1], v[36:37]
	v_mul_f64_e32 v[0:1], v[44:45], v[0:1]
	scratch_load_b128 v[44:47], off, off offset:780 th:TH_LOAD_LU ; 16-byte Folded Reload
	v_fma_f64 v[92:93], v[42:43], v[2:3], -v[0:1]
	ds_load_b128 v[0:3], v40 offset:44000
	s_wait_loadcnt_dscnt 0x0
	v_mul_f64_e32 v[36:37], v[46:47], v[2:3]
	s_delay_alu instid0(VALU_DEP_1) | instskip(SKIP_1) | instid1(VALU_DEP_1)
	v_fma_f64 v[42:43], v[44:45], v[0:1], v[36:37]
	v_mul_f64_e32 v[0:1], v[46:47], v[0:1]
	v_fma_f64 v[36:37], v[44:45], v[2:3], -v[0:1]
	ds_load_b128 v[0:3], v40 offset:56000
	s_wait_dscnt 0x0
	v_mul_f64_e32 v[44:45], v[52:53], v[2:3]
	s_delay_alu instid0(VALU_DEP_1)
	v_fma_f64 v[44:45], v[50:51], v[0:1], v[44:45]
	v_mul_f64_e32 v[0:1], v[52:53], v[0:1]
	scratch_load_b128 v[52:55], off, off offset:820 th:TH_LOAD_LU ; 16-byte Folded Reload
	v_fma_f64 v[46:47], v[50:51], v[2:3], -v[0:1]
	ds_load_b128 v[0:3], v40 offset:22000
	s_wait_loadcnt_dscnt 0x0
	v_mul_f64_e32 v[50:51], v[54:55], v[2:3]
	s_delay_alu instid0(VALU_DEP_1) | instskip(SKIP_1) | instid1(VALU_DEP_1)
	v_fma_f64 v[80:81], v[52:53], v[0:1], v[50:51]
	v_mul_f64_e32 v[0:1], v[54:55], v[0:1]
	v_fma_f64 v[84:85], v[52:53], v[2:3], -v[0:1]
	ds_load_b128 v[0:3], v40 offset:34000
	s_wait_dscnt 0x0
	v_mul_f64_e32 v[50:51], v[96:97], v[2:3]
	s_delay_alu instid0(VALU_DEP_1) | instskip(SKIP_1) | instid1(VALU_DEP_1)
	v_fma_f64 v[54:55], v[94:95], v[0:1], v[50:51]
	v_mul_f64_e32 v[0:1], v[96:97], v[0:1]
	v_fma_f64 v[64:65], v[94:95], v[2:3], -v[0:1]
	scratch_load_b128 v[94:97], off, off offset:852 th:TH_LOAD_LU ; 16-byte Folded Reload
	ds_load_b128 v[0:3], v40 offset:46000
	s_wait_loadcnt_dscnt 0x0
	v_mul_f64_e32 v[50:51], v[96:97], v[2:3]
	s_delay_alu instid0(VALU_DEP_1) | instskip(SKIP_1) | instid1(VALU_DEP_1)
	v_fma_f64 v[72:73], v[94:95], v[0:1], v[50:51]
	v_mul_f64_e32 v[0:1], v[96:97], v[0:1]
	v_fma_f64 v[76:77], v[94:95], v[2:3], -v[0:1]
	scratch_load_b128 v[94:97], off, off offset:868 th:TH_LOAD_LU ; 16-byte Folded Reload
	ds_load_b128 v[0:3], v40 offset:58000
	s_wait_loadcnt_dscnt 0x0
	v_mul_f64_e32 v[50:51], v[96:97], v[2:3]
	s_delay_alu instid0(VALU_DEP_1) | instskip(SKIP_1) | instid1(VALU_DEP_1)
	v_fma_f64 v[52:53], v[94:95], v[0:1], v[50:51]
	v_mul_f64_e32 v[0:1], v[96:97], v[0:1]
	v_fma_f64 v[50:51], v[94:95], v[2:3], -v[0:1]
	v_add_f64_e64 v[0:1], v[8:9], -v[4:5]
	v_add_f64_e64 v[2:3], v[12:13], -v[102:103]
	v_add_f64_e32 v[94:95], v[4:5], v[102:103]
	s_delay_alu instid0(VALU_DEP_2) | instskip(SKIP_2) | instid1(VALU_DEP_1)
	v_add_f64_e32 v[98:99], v[0:1], v[2:3]
	v_add_f64_e64 v[0:1], v[10:11], -v[6:7]
	v_add_f64_e64 v[2:3], v[14:15], -v[106:107]
	v_add_f64_e32 v[100:101], v[0:1], v[2:3]
	ds_load_b128 v[0:3], v40
	s_wait_dscnt 0x0
	v_fma_f64 v[104:105], v[94:95], -0.5, v[0:1]
	v_add_f64_e32 v[94:95], v[6:7], v[106:107]
	s_delay_alu instid0(VALU_DEP_1) | instskip(NEXT) | instid1(VALU_DEP_3)
	v_fma_f64 v[108:109], v[94:95], -0.5, v[2:3]
	v_fma_f64 v[94:95], v[110:111], s[16:17], v[104:105]
	v_fma_f64 v[104:105], v[110:111], s[18:19], v[104:105]
	s_delay_alu instid0(VALU_DEP_3) | instskip(NEXT) | instid1(VALU_DEP_3)
	v_fma_f64 v[96:97], v[114:115], s[18:19], v[108:109]
	v_fma_f64 v[94:95], v[112:113], s[14:15], v[94:95]
	;; [unrolled: 1-line block ×3, first 2 shown]
	s_delay_alu instid0(VALU_DEP_4) | instskip(NEXT) | instid1(VALU_DEP_4)
	v_fma_f64 v[104:105], v[112:113], s[12:13], v[104:105]
	v_fma_f64 v[96:97], v[116:117], s[12:13], v[96:97]
	s_delay_alu instid0(VALU_DEP_4) | instskip(NEXT) | instid1(VALU_DEP_4)
	v_fma_f64 v[94:95], v[98:99], s[20:21], v[94:95]
	v_fma_f64 v[108:109], v[116:117], s[14:15], v[108:109]
	s_delay_alu instid0(VALU_DEP_4) | instskip(SKIP_2) | instid1(VALU_DEP_4)
	v_fma_f64 v[98:99], v[98:99], s[20:21], v[104:105]
	v_add_f64_e32 v[104:105], v[8:9], v[12:13]
	v_fma_f64 v[96:97], v[100:101], s[20:21], v[96:97]
	v_fma_f64 v[100:101], v[100:101], s[20:21], v[108:109]
	s_delay_alu instid0(VALU_DEP_3) | instskip(SKIP_3) | instid1(VALU_DEP_3)
	v_fma_f64 v[108:109], v[104:105], -0.5, v[0:1]
	v_add_f64_e32 v[104:105], v[10:11], v[14:15]
	v_add_f64_e32 v[0:1], v[0:1], v[4:5]
	v_add_f64_e64 v[4:5], v[4:5], -v[8:9]
	v_fma_f64 v[118:119], v[104:105], -0.5, v[2:3]
	v_add_f64_e32 v[2:3], v[2:3], v[6:7]
	s_delay_alu instid0(VALU_DEP_4) | instskip(SKIP_2) | instid1(VALU_DEP_4)
	v_add_f64_e32 v[0:1], v[0:1], v[8:9]
	v_add_f64_e64 v[6:7], v[6:7], -v[10:11]
	v_add_f64_e64 v[8:9], v[102:103], -v[12:13]
	v_add_f64_e32 v[2:3], v[2:3], v[10:11]
	s_delay_alu instid0(VALU_DEP_4)
	v_add_f64_e32 v[0:1], v[0:1], v[12:13]
	v_fma_f64 v[10:11], v[112:113], s[16:17], v[108:109]
	v_fma_f64 v[12:13], v[116:117], s[16:17], v[118:119]
	v_add_f64_e32 v[4:5], v[4:5], v[8:9]
	v_add_f64_e32 v[2:3], v[2:3], v[14:15]
	v_add_f64_e32 v[102:103], v[0:1], v[102:103]
	v_add_f64_e64 v[0:1], v[106:107], -v[14:15]
	v_fma_f64 v[14:15], v[116:117], s[18:19], v[118:119]
	v_fma_f64 v[8:9], v[114:115], s[12:13], v[12:13]
	v_add_f64_e32 v[104:105], v[2:3], v[106:107]
	v_fma_f64 v[2:3], v[112:113], s[18:19], v[108:109]
	v_add_f64_e32 v[0:1], v[6:7], v[0:1]
	v_fma_f64 v[6:7], v[110:111], s[12:13], v[10:11]
	v_fma_f64 v[10:11], v[114:115], s[14:15], v[14:15]
	s_delay_alu instid0(VALU_DEP_4) | instskip(NEXT) | instid1(VALU_DEP_4)
	v_fma_f64 v[2:3], v[110:111], s[14:15], v[2:3]
	v_fma_f64 v[108:109], v[0:1], s[20:21], v[8:9]
	s_delay_alu instid0(VALU_DEP_4) | instskip(NEXT) | instid1(VALU_DEP_4)
	v_fma_f64 v[110:111], v[4:5], s[20:21], v[6:7]
	v_fma_f64 v[112:113], v[0:1], s[20:21], v[10:11]
	s_delay_alu instid0(VALU_DEP_4)
	v_fma_f64 v[106:107], v[4:5], s[20:21], v[2:3]
	ds_load_b128 v[0:3], v40 offset:10000
	ds_load_b128 v[114:117], v40 offset:2000
	;; [unrolled: 1-line block ×5, first 2 shown]
	global_wb scope:SCOPE_SE
	s_wait_dscnt 0x0
	s_barrier_signal -1
	s_barrier_wait -1
	global_inv scope:SCOPE_SE
	scratch_load_b32 v118, off, off offset:1272 th:TH_LOAD_LU ; 4-byte Folded Reload
	s_wait_loadcnt 0x0
	ds_store_b128 v118, v[102:105]
	ds_store_b128 v118, v[106:109] offset:48
	ds_store_b128 v118, v[94:97] offset:96
	;; [unrolled: 1-line block ×4, first 2 shown]
	v_add_f64_e64 v[94:95], v[20:21], -v[74:75]
	v_add_f64_e64 v[96:97], v[82:83], -v[16:17]
	;; [unrolled: 1-line block ×6, first 2 shown]
	v_add_f64_e32 v[98:99], v[94:95], v[96:97]
	v_add_f64_e64 v[94:95], v[78:79], -v[22:23]
	v_add_f64_e64 v[96:97], v[18:19], -v[86:87]
	s_delay_alu instid0(VALU_DEP_1) | instskip(SKIP_1) | instid1(VALU_DEP_1)
	v_add_f64_e32 v[100:101], v[94:95], v[96:97]
	v_add_f64_e32 v[94:95], v[74:75], v[16:17]
	v_fma_f64 v[102:103], v[94:95], -0.5, v[114:115]
	v_add_f64_e32 v[94:95], v[22:23], v[86:87]
	s_delay_alu instid0(VALU_DEP_1) | instskip(NEXT) | instid1(VALU_DEP_3)
	v_fma_f64 v[104:105], v[94:95], -0.5, v[116:117]
	v_fma_f64 v[94:95], v[106:107], s[16:17], v[102:103]
	v_fma_f64 v[102:103], v[106:107], s[18:19], v[102:103]
	s_delay_alu instid0(VALU_DEP_3) | instskip(SKIP_1) | instid1(VALU_DEP_4)
	v_fma_f64 v[96:97], v[110:111], s[18:19], v[104:105]
	v_fma_f64 v[104:105], v[110:111], s[16:17], v[104:105]
	;; [unrolled: 1-line block ×3, first 2 shown]
	s_delay_alu instid0(VALU_DEP_4) | instskip(NEXT) | instid1(VALU_DEP_4)
	v_fma_f64 v[102:103], v[108:109], s[12:13], v[102:103]
	v_fma_f64 v[96:97], v[112:113], s[12:13], v[96:97]
	s_delay_alu instid0(VALU_DEP_4) | instskip(NEXT) | instid1(VALU_DEP_4)
	v_fma_f64 v[104:105], v[112:113], s[14:15], v[104:105]
	v_fma_f64 v[94:95], v[98:99], s[20:21], v[94:95]
	s_delay_alu instid0(VALU_DEP_4) | instskip(SKIP_4) | instid1(VALU_DEP_4)
	v_fma_f64 v[98:99], v[98:99], s[20:21], v[102:103]
	v_add_f64_e32 v[102:103], v[20:21], v[82:83]
	v_fma_f64 v[96:97], v[100:101], s[20:21], v[96:97]
	v_fma_f64 v[100:101], v[100:101], s[20:21], v[104:105]
	v_add_f64_e32 v[104:105], v[78:79], v[18:19]
	v_fma_f64 v[102:103], v[102:103], -0.5, v[114:115]
	v_add_f64_e32 v[114:115], v[114:115], v[74:75]
	v_add_f64_e64 v[74:75], v[74:75], -v[20:21]
	s_delay_alu instid0(VALU_DEP_4) | instskip(SKIP_1) | instid1(VALU_DEP_4)
	v_fma_f64 v[104:105], v[104:105], -0.5, v[116:117]
	v_add_f64_e32 v[116:117], v[116:117], v[22:23]
	v_add_f64_e32 v[20:21], v[114:115], v[20:21]
	s_delay_alu instid0(VALU_DEP_2) | instskip(SKIP_1) | instid1(VALU_DEP_3)
	v_add_f64_e32 v[114:115], v[116:117], v[78:79]
	v_add_f64_e64 v[78:79], v[22:23], -v[78:79]
	v_add_f64_e32 v[20:21], v[20:21], v[82:83]
	v_add_f64_e64 v[82:83], v[16:17], -v[82:83]
	s_delay_alu instid0(VALU_DEP_4) | instskip(NEXT) | instid1(VALU_DEP_3)
	v_add_f64_e32 v[22:23], v[114:115], v[18:19]
	v_add_f64_e32 v[20:21], v[20:21], v[16:17]
	v_add_f64_e64 v[16:17], v[86:87], -v[18:19]
	v_fma_f64 v[18:19], v[108:109], s[18:19], v[102:103]
	v_add_f64_e32 v[74:75], v[74:75], v[82:83]
	v_add_f64_e32 v[22:23], v[22:23], v[86:87]
	v_fma_f64 v[86:87], v[108:109], s[16:17], v[102:103]
	v_fma_f64 v[102:103], v[112:113], s[16:17], v[104:105]
	v_add_f64_e32 v[78:79], v[78:79], v[16:17]
	v_fma_f64 v[16:17], v[106:107], s[14:15], v[18:19]
	v_fma_f64 v[104:105], v[112:113], s[18:19], v[104:105]
	;; [unrolled: 1-line block ×4, first 2 shown]
	s_delay_alu instid0(VALU_DEP_4) | instskip(NEXT) | instid1(VALU_DEP_4)
	v_fma_f64 v[16:17], v[74:75], s[20:21], v[16:17]
	v_fma_f64 v[86:87], v[110:111], s[14:15], v[104:105]
	s_delay_alu instid0(VALU_DEP_4)
	v_fma_f64 v[102:103], v[74:75], s[20:21], v[82:83]
	scratch_load_b32 v74, off, off offset:1184 th:TH_LOAD_LU ; 4-byte Folded Reload
	v_fma_f64 v[18:19], v[78:79], s[20:21], v[18:19]
	v_add_f64_e64 v[82:83], v[70:71], -v[26:27]
	v_fma_f64 v[104:105], v[78:79], s[20:21], v[86:87]
	s_wait_loadcnt 0x0
	ds_store_b128 v74, v[20:23]
	ds_store_b128 v74, v[16:19] offset:48
	ds_store_b128 v74, v[94:97] offset:96
	;; [unrolled: 1-line block ×4, first 2 shown]
	v_add_f64_e64 v[16:17], v[56:57], -v[58:59]
	v_add_f64_e64 v[18:19], v[88:89], -v[24:25]
	;; [unrolled: 1-line block ×5, first 2 shown]
	s_delay_alu instid0(VALU_DEP_4) | instskip(SKIP_2) | instid1(VALU_DEP_1)
	v_add_f64_e32 v[20:21], v[16:17], v[18:19]
	v_add_f64_e64 v[16:17], v[70:71], -v[28:29]
	v_add_f64_e64 v[18:19], v[26:27], -v[66:67]
	v_add_f64_e32 v[22:23], v[16:17], v[18:19]
	v_add_f64_e32 v[16:17], v[58:59], v[24:25]
	s_delay_alu instid0(VALU_DEP_1) | instskip(SKIP_1) | instid1(VALU_DEP_1)
	v_fma_f64 v[74:75], v[16:17], -0.5, v[12:13]
	v_add_f64_e32 v[16:17], v[28:29], v[66:67]
	v_fma_f64 v[78:79], v[16:17], -0.5, v[14:15]
	s_delay_alu instid0(VALU_DEP_3) | instskip(SKIP_1) | instid1(VALU_DEP_3)
	v_fma_f64 v[16:17], v[82:83], s[16:17], v[74:75]
	v_fma_f64 v[74:75], v[82:83], s[18:19], v[74:75]
	;; [unrolled: 1-line block ×4, first 2 shown]
	s_delay_alu instid0(VALU_DEP_4) | instskip(NEXT) | instid1(VALU_DEP_4)
	v_fma_f64 v[16:17], v[86:87], s[14:15], v[16:17]
	v_fma_f64 v[74:75], v[86:87], s[12:13], v[74:75]
	s_delay_alu instid0(VALU_DEP_4) | instskip(NEXT) | instid1(VALU_DEP_4)
	v_fma_f64 v[18:19], v[96:97], s[12:13], v[18:19]
	v_fma_f64 v[78:79], v[96:97], s[14:15], v[78:79]
	;; [unrolled: 3-line block ×3, first 2 shown]
	v_add_f64_e32 v[74:75], v[56:57], v[88:89]
	v_fma_f64 v[18:19], v[22:23], s[20:21], v[18:19]
	v_fma_f64 v[22:23], v[22:23], s[20:21], v[78:79]
	v_add_f64_e32 v[78:79], v[70:71], v[26:27]
	s_delay_alu instid0(VALU_DEP_4) | instskip(SKIP_2) | instid1(VALU_DEP_4)
	v_fma_f64 v[74:75], v[74:75], -0.5, v[12:13]
	v_add_f64_e32 v[12:13], v[12:13], v[58:59]
	v_add_f64_e64 v[58:59], v[58:59], -v[56:57]
	v_fma_f64 v[78:79], v[78:79], -0.5, v[14:15]
	v_add_f64_e32 v[14:15], v[14:15], v[28:29]
	v_add_f64_e64 v[28:29], v[28:29], -v[70:71]
	v_add_f64_e32 v[12:13], v[12:13], v[56:57]
	v_add_f64_e64 v[56:57], v[24:25], -v[88:89]
	s_delay_alu instid0(VALU_DEP_4) | instskip(SKIP_1) | instid1(VALU_DEP_4)
	v_add_f64_e32 v[14:15], v[14:15], v[70:71]
	v_fma_f64 v[70:71], v[96:97], s[16:17], v[78:79]
	v_add_f64_e32 v[12:13], v[12:13], v[88:89]
	s_delay_alu instid0(VALU_DEP_4) | instskip(NEXT) | instid1(VALU_DEP_4)
	v_add_f64_e32 v[56:57], v[58:59], v[56:57]
	v_add_f64_e32 v[14:15], v[14:15], v[26:27]
	s_delay_alu instid0(VALU_DEP_3) | instskip(SKIP_2) | instid1(VALU_DEP_4)
	v_add_f64_e32 v[12:13], v[12:13], v[24:25]
	v_add_f64_e64 v[24:25], v[66:67], -v[26:27]
	v_fma_f64 v[26:27], v[86:87], s[18:19], v[74:75]
	v_add_f64_e32 v[14:15], v[14:15], v[66:67]
	v_fma_f64 v[66:67], v[86:87], s[16:17], v[74:75]
	v_fma_f64 v[74:75], v[96:97], s[18:19], v[78:79]
	v_add_f64_e32 v[28:29], v[28:29], v[24:25]
	v_fma_f64 v[24:25], v[82:83], s[14:15], v[26:27]
	v_fma_f64 v[26:27], v[94:95], s[12:13], v[70:71]
	;; [unrolled: 1-line block ×4, first 2 shown]
	s_delay_alu instid0(VALU_DEP_4) | instskip(NEXT) | instid1(VALU_DEP_4)
	v_fma_f64 v[24:25], v[56:57], s[20:21], v[24:25]
	v_fma_f64 v[26:27], v[28:29], s[20:21], v[26:27]
	s_delay_alu instid0(VALU_DEP_4) | instskip(NEXT) | instid1(VALU_DEP_4)
	v_fma_f64 v[56:57], v[56:57], s[20:21], v[58:59]
	v_fma_f64 v[58:59], v[28:29], s[20:21], v[66:67]
	scratch_load_b32 v28, off, off offset:1116 th:TH_LOAD_LU ; 4-byte Folded Reload
	s_wait_loadcnt 0x0
	ds_store_b128 v28, v[12:15]
	ds_store_b128 v28, v[24:27] offset:48
	ds_store_b128 v28, v[16:19] offset:96
	;; [unrolled: 1-line block ×4, first 2 shown]
	v_add_f64_e64 v[12:13], v[216:217], -v[62:63]
	v_add_f64_e64 v[14:15], v[60:61], -v[68:69]
	v_add_f64_e64 v[28:29], v[216:217], -v[60:61]
	v_add_f64_e64 v[24:25], v[254:255], -v[30:31]
	v_add_f64_e64 v[56:57], v[62:63], -v[68:69]
	v_add_f64_e64 v[26:27], v[32:33], -v[90:91]
	v_add_f64_e64 v[58:59], v[62:63], -v[216:217]
	v_add_f64_e32 v[16:17], v[12:13], v[14:15]
	v_add_f64_e64 v[12:13], v[254:255], -v[32:33]
	v_add_f64_e64 v[14:15], v[30:31], -v[90:91]
	s_delay_alu instid0(VALU_DEP_1) | instskip(SKIP_1) | instid1(VALU_DEP_1)
	v_add_f64_e32 v[18:19], v[12:13], v[14:15]
	v_add_f64_e32 v[12:13], v[62:63], v[68:69]
	v_fma_f64 v[20:21], v[12:13], -0.5, v[8:9]
	v_add_f64_e32 v[12:13], v[32:33], v[90:91]
	s_delay_alu instid0(VALU_DEP_1) | instskip(NEXT) | instid1(VALU_DEP_3)
	v_fma_f64 v[22:23], v[12:13], -0.5, v[10:11]
	v_fma_f64 v[12:13], v[24:25], s[16:17], v[20:21]
	v_fma_f64 v[20:21], v[24:25], s[18:19], v[20:21]
	s_delay_alu instid0(VALU_DEP_3) | instskip(SKIP_1) | instid1(VALU_DEP_4)
	v_fma_f64 v[14:15], v[28:29], s[18:19], v[22:23]
	v_fma_f64 v[22:23], v[28:29], s[16:17], v[22:23]
	;; [unrolled: 1-line block ×3, first 2 shown]
	s_delay_alu instid0(VALU_DEP_4) | instskip(NEXT) | instid1(VALU_DEP_4)
	v_fma_f64 v[20:21], v[26:27], s[12:13], v[20:21]
	v_fma_f64 v[14:15], v[56:57], s[12:13], v[14:15]
	s_delay_alu instid0(VALU_DEP_4) | instskip(NEXT) | instid1(VALU_DEP_4)
	v_fma_f64 v[22:23], v[56:57], s[14:15], v[22:23]
	v_fma_f64 v[12:13], v[16:17], s[20:21], v[12:13]
	s_delay_alu instid0(VALU_DEP_4) | instskip(SKIP_4) | instid1(VALU_DEP_4)
	v_fma_f64 v[16:17], v[16:17], s[20:21], v[20:21]
	v_add_f64_e32 v[20:21], v[216:217], v[60:61]
	v_fma_f64 v[14:15], v[18:19], s[20:21], v[14:15]
	v_fma_f64 v[18:19], v[18:19], s[20:21], v[22:23]
	v_add_f64_e32 v[22:23], v[254:255], v[30:31]
	v_fma_f64 v[20:21], v[20:21], -0.5, v[8:9]
	v_add_f64_e32 v[8:9], v[8:9], v[62:63]
	s_delay_alu instid0(VALU_DEP_3)
	v_fma_f64 v[22:23], v[22:23], -0.5, v[10:11]
	v_add_f64_e32 v[10:11], v[10:11], v[32:33]
	v_add_f64_e64 v[32:33], v[32:33], -v[254:255]
	v_fma_f64 v[62:63], v[26:27], s[18:19], v[20:21]
	v_fma_f64 v[20:21], v[26:27], s[16:17], v[20:21]
	v_add_f64_e32 v[8:9], v[8:9], v[216:217]
	v_fma_f64 v[26:27], v[56:57], s[16:17], v[22:23]
	v_add_f64_e32 v[10:11], v[10:11], v[254:255]
	v_fma_f64 v[22:23], v[56:57], s[18:19], v[22:23]
	s_delay_alu instid0(VALU_DEP_4)
	v_add_f64_e32 v[8:9], v[8:9], v[60:61]
	v_add_f64_e64 v[60:61], v[68:69], -v[60:61]
	v_fma_f64 v[26:27], v[28:29], s[12:13], v[26:27]
	v_add_f64_e32 v[10:11], v[10:11], v[30:31]
	v_add_f64_e64 v[30:31], v[90:91], -v[30:31]
	v_fma_f64 v[28:29], v[28:29], s[14:15], v[22:23]
	v_add_f64_e32 v[8:9], v[8:9], v[68:69]
	v_add_f64_e32 v[56:57], v[58:59], v[60:61]
	;; [unrolled: 1-line block ×4, first 2 shown]
	v_fma_f64 v[32:33], v[24:25], s[14:15], v[62:63]
	v_fma_f64 v[24:25], v[24:25], s[12:13], v[20:21]
	s_delay_alu instid0(VALU_DEP_3)
	v_fma_f64 v[22:23], v[30:31], s[20:21], v[26:27]
	v_fma_f64 v[26:27], v[30:31], s[20:21], v[28:29]
	scratch_load_b32 v28, off, off offset:1044 th:TH_LOAD_LU ; 4-byte Folded Reload
	v_fma_f64 v[20:21], v[56:57], s[20:21], v[32:33]
	v_fma_f64 v[24:25], v[56:57], s[20:21], v[24:25]
	s_wait_loadcnt 0x0
	ds_store_b128 v28, v[8:11]
	ds_store_b128 v28, v[20:23] offset:48
	ds_store_b128 v28, v[12:15] offset:96
	;; [unrolled: 1-line block ×4, first 2 shown]
	v_add_f64_e64 v[8:9], v[38:39], -v[34:35]
	v_add_f64_e64 v[10:11], v[42:43], -v[44:45]
	v_add_f64_e64 v[24:25], v[38:39], -v[42:43]
	v_add_f64_e64 v[20:21], v[92:93], -v[36:37]
	v_add_f64_e64 v[26:27], v[34:35], -v[44:45]
	v_add_f64_e64 v[22:23], v[48:49], -v[46:47]
	v_add_f64_e64 v[28:29], v[34:35], -v[38:39]
	v_add_f64_e64 v[30:31], v[48:49], -v[92:93]
	v_add_f64_e64 v[32:33], v[44:45], -v[42:43]
	v_add_f64_e32 v[12:13], v[8:9], v[10:11]
	v_add_f64_e64 v[8:9], v[92:93], -v[48:49]
	v_add_f64_e64 v[10:11], v[36:37], -v[46:47]
	s_delay_alu instid0(VALU_DEP_1) | instskip(SKIP_1) | instid1(VALU_DEP_1)
	v_add_f64_e32 v[14:15], v[8:9], v[10:11]
	v_add_f64_e32 v[8:9], v[34:35], v[44:45]
	v_fma_f64 v[16:17], v[8:9], -0.5, v[4:5]
	v_add_f64_e32 v[8:9], v[48:49], v[46:47]
	s_delay_alu instid0(VALU_DEP_1) | instskip(NEXT) | instid1(VALU_DEP_3)
	v_fma_f64 v[18:19], v[8:9], -0.5, v[6:7]
	v_fma_f64 v[8:9], v[20:21], s[16:17], v[16:17]
	v_fma_f64 v[16:17], v[20:21], s[18:19], v[16:17]
	s_delay_alu instid0(VALU_DEP_3) | instskip(SKIP_1) | instid1(VALU_DEP_4)
	v_fma_f64 v[10:11], v[24:25], s[18:19], v[18:19]
	v_fma_f64 v[18:19], v[24:25], s[16:17], v[18:19]
	;; [unrolled: 1-line block ×3, first 2 shown]
	s_delay_alu instid0(VALU_DEP_4) | instskip(NEXT) | instid1(VALU_DEP_4)
	v_fma_f64 v[16:17], v[22:23], s[12:13], v[16:17]
	v_fma_f64 v[10:11], v[26:27], s[12:13], v[10:11]
	s_delay_alu instid0(VALU_DEP_4) | instskip(NEXT) | instid1(VALU_DEP_4)
	v_fma_f64 v[18:19], v[26:27], s[14:15], v[18:19]
	v_fma_f64 v[8:9], v[12:13], s[20:21], v[8:9]
	s_delay_alu instid0(VALU_DEP_4) | instskip(SKIP_4) | instid1(VALU_DEP_4)
	v_fma_f64 v[12:13], v[12:13], s[20:21], v[16:17]
	v_add_f64_e32 v[16:17], v[38:39], v[42:43]
	v_fma_f64 v[10:11], v[14:15], s[20:21], v[10:11]
	v_fma_f64 v[14:15], v[14:15], s[20:21], v[18:19]
	v_add_f64_e32 v[18:19], v[92:93], v[36:37]
	v_fma_f64 v[16:17], v[16:17], -0.5, v[4:5]
	v_add_f64_e32 v[4:5], v[4:5], v[34:35]
	v_add_f64_e64 v[34:35], v[46:47], -v[36:37]
	s_delay_alu instid0(VALU_DEP_4) | instskip(SKIP_1) | instid1(VALU_DEP_4)
	v_fma_f64 v[18:19], v[18:19], -0.5, v[6:7]
	v_add_f64_e32 v[6:7], v[6:7], v[48:49]
	v_add_f64_e32 v[4:5], v[4:5], v[38:39]
	s_delay_alu instid0(VALU_DEP_2) | instskip(NEXT) | instid1(VALU_DEP_2)
	v_add_f64_e32 v[6:7], v[6:7], v[92:93]
	v_add_f64_e32 v[4:5], v[4:5], v[42:43]
	s_delay_alu instid0(VALU_DEP_2)
	v_add_f64_e32 v[6:7], v[6:7], v[36:37]
	v_fma_f64 v[36:37], v[22:23], s[18:19], v[16:17]
	v_fma_f64 v[16:17], v[22:23], s[16:17], v[16:17]
	;; [unrolled: 1-line block ×4, first 2 shown]
	v_add_f64_e32 v[26:27], v[28:29], v[32:33]
	v_add_f64_e32 v[28:29], v[30:31], v[34:35]
	;; [unrolled: 1-line block ×4, first 2 shown]
	v_fma_f64 v[30:31], v[20:21], s[14:15], v[36:37]
	v_fma_f64 v[20:21], v[20:21], s[12:13], v[16:17]
	;; [unrolled: 1-line block ×4, first 2 shown]
	s_delay_alu instid0(VALU_DEP_4) | instskip(NEXT) | instid1(VALU_DEP_4)
	v_fma_f64 v[16:17], v[26:27], s[20:21], v[30:31]
	v_fma_f64 v[20:21], v[26:27], s[20:21], v[20:21]
	s_delay_alu instid0(VALU_DEP_4) | instskip(NEXT) | instid1(VALU_DEP_4)
	v_fma_f64 v[18:19], v[28:29], s[20:21], v[22:23]
	v_fma_f64 v[22:23], v[28:29], s[20:21], v[24:25]
	scratch_load_b32 v24, off, off offset:956 th:TH_LOAD_LU ; 4-byte Folded Reload
	s_wait_loadcnt 0x0
	ds_store_b128 v24, v[4:7]
	ds_store_b128 v24, v[16:19] offset:48
	ds_store_b128 v24, v[8:11] offset:96
	;; [unrolled: 1-line block ×4, first 2 shown]
	v_add_f64_e64 v[4:5], v[54:55], -v[80:81]
	v_add_f64_e64 v[6:7], v[72:73], -v[52:53]
	v_add_f64_e64 v[16:17], v[64:65], -v[76:77]
	v_add_f64_e64 v[20:21], v[54:55], -v[72:73]
	v_add_f64_e64 v[18:19], v[84:85], -v[50:51]
	v_add_f64_e64 v[22:23], v[80:81], -v[52:53]
	v_add_f64_e64 v[24:25], v[80:81], -v[54:55]
	v_add_f64_e64 v[26:27], v[84:85], -v[64:65]
	v_add_f64_e64 v[28:29], v[52:53], -v[72:73]
	v_add_f64_e64 v[30:31], v[50:51], -v[76:77]
	v_add_f64_e32 v[8:9], v[4:5], v[6:7]
	v_add_f64_e64 v[4:5], v[64:65], -v[84:85]
	v_add_f64_e64 v[6:7], v[76:77], -v[50:51]
	s_delay_alu instid0(VALU_DEP_1) | instskip(SKIP_1) | instid1(VALU_DEP_1)
	v_add_f64_e32 v[10:11], v[4:5], v[6:7]
	v_add_f64_e32 v[4:5], v[80:81], v[52:53]
	v_fma_f64 v[12:13], v[4:5], -0.5, v[0:1]
	v_add_f64_e32 v[4:5], v[84:85], v[50:51]
	s_delay_alu instid0(VALU_DEP_1) | instskip(NEXT) | instid1(VALU_DEP_3)
	v_fma_f64 v[14:15], v[4:5], -0.5, v[2:3]
	v_fma_f64 v[4:5], v[16:17], s[16:17], v[12:13]
	v_fma_f64 v[12:13], v[16:17], s[18:19], v[12:13]
	s_delay_alu instid0(VALU_DEP_3) | instskip(SKIP_1) | instid1(VALU_DEP_4)
	v_fma_f64 v[6:7], v[20:21], s[18:19], v[14:15]
	v_fma_f64 v[14:15], v[20:21], s[16:17], v[14:15]
	;; [unrolled: 1-line block ×3, first 2 shown]
	s_delay_alu instid0(VALU_DEP_4) | instskip(NEXT) | instid1(VALU_DEP_4)
	v_fma_f64 v[12:13], v[18:19], s[12:13], v[12:13]
	v_fma_f64 v[6:7], v[22:23], s[12:13], v[6:7]
	s_delay_alu instid0(VALU_DEP_4) | instskip(NEXT) | instid1(VALU_DEP_4)
	v_fma_f64 v[14:15], v[22:23], s[14:15], v[14:15]
	v_fma_f64 v[4:5], v[8:9], s[20:21], v[4:5]
	s_delay_alu instid0(VALU_DEP_4) | instskip(SKIP_4) | instid1(VALU_DEP_4)
	v_fma_f64 v[8:9], v[8:9], s[20:21], v[12:13]
	v_add_f64_e32 v[12:13], v[54:55], v[72:73]
	v_fma_f64 v[6:7], v[10:11], s[20:21], v[6:7]
	v_fma_f64 v[10:11], v[10:11], s[20:21], v[14:15]
	v_add_f64_e32 v[14:15], v[64:65], v[76:77]
	v_fma_f64 v[12:13], v[12:13], -0.5, v[0:1]
	v_add_f64_e32 v[0:1], v[0:1], v[80:81]
	s_delay_alu instid0(VALU_DEP_3) | instskip(SKIP_1) | instid1(VALU_DEP_4)
	v_fma_f64 v[14:15], v[14:15], -0.5, v[2:3]
	v_add_f64_e32 v[2:3], v[2:3], v[84:85]
	v_fma_f64 v[32:33], v[18:19], s[18:19], v[12:13]
	v_fma_f64 v[12:13], v[18:19], s[16:17], v[12:13]
	v_add_f64_e32 v[0:1], v[0:1], v[54:55]
	v_fma_f64 v[18:19], v[22:23], s[16:17], v[14:15]
	v_fma_f64 v[14:15], v[22:23], s[18:19], v[14:15]
	v_add_f64_e32 v[22:23], v[24:25], v[28:29]
	v_add_f64_e32 v[24:25], v[26:27], v[30:31]
	;; [unrolled: 1-line block ×4, first 2 shown]
	v_fma_f64 v[26:27], v[16:17], s[14:15], v[32:33]
	v_fma_f64 v[16:17], v[16:17], s[12:13], v[12:13]
	v_fma_f64 v[18:19], v[20:21], s[12:13], v[18:19]
	v_fma_f64 v[20:21], v[20:21], s[14:15], v[14:15]
	v_add_f64_e32 v[2:3], v[2:3], v[76:77]
	v_add_f64_e32 v[0:1], v[0:1], v[52:53]
	v_fma_f64 v[12:13], v[22:23], s[20:21], v[26:27]
	v_fma_f64 v[16:17], v[22:23], s[20:21], v[16:17]
	;; [unrolled: 1-line block ×4, first 2 shown]
	scratch_load_b32 v20, off, off offset:1340 th:TH_LOAD_LU ; 4-byte Folded Reload
	v_add_f64_e32 v[2:3], v[2:3], v[50:51]
	s_wait_loadcnt 0x0
	ds_store_b128 v20, v[0:3]
	ds_store_b128 v20, v[12:15] offset:48
	ds_store_b128 v20, v[4:7] offset:96
	;; [unrolled: 1-line block ×4, first 2 shown]
	global_wb scope:SCOPE_SE
	s_wait_dscnt 0x0
	s_barrier_signal -1
	s_barrier_wait -1
	global_inv scope:SCOPE_SE
	s_clause 0x3
	scratch_load_b128 v[6:9], off, off offset:888 th:TH_LOAD_LU
	scratch_load_b128 v[10:13], off, off offset:904 th:TH_LOAD_LU
	;; [unrolled: 1-line block ×4, first 2 shown]
	ds_load_b128 v[0:3], v40 offset:12000
	s_clause 0x2
	scratch_load_b128 v[22:25], off, off offset:1324 th:TH_LOAD_LU
	scratch_load_b128 v[28:31], off, off offset:1360 th:TH_LOAD_LU
	;; [unrolled: 1-line block ×3, first 2 shown]
	s_wait_loadcnt_dscnt 0x600
	v_mul_f64_e32 v[4:5], v[8:9], v[2:3]
	s_delay_alu instid0(VALU_DEP_1) | instskip(SKIP_1) | instid1(VALU_DEP_1)
	v_fma_f64 v[4:5], v[6:7], v[0:1], v[4:5]
	v_mul_f64_e32 v[0:1], v[8:9], v[0:1]
	v_fma_f64 v[6:7], v[6:7], v[2:3], -v[0:1]
	ds_load_b128 v[0:3], v40 offset:24000
	s_wait_loadcnt_dscnt 0x500
	v_mul_f64_e32 v[8:9], v[12:13], v[2:3]
	s_delay_alu instid0(VALU_DEP_1) | instskip(SKIP_1) | instid1(VALU_DEP_1)
	v_fma_f64 v[8:9], v[10:11], v[0:1], v[8:9]
	v_mul_f64_e32 v[0:1], v[12:13], v[0:1]
	v_fma_f64 v[10:11], v[10:11], v[2:3], -v[0:1]
	ds_load_b128 v[0:3], v40 offset:36000
	s_wait_loadcnt_dscnt 0x400
	v_mul_f64_e32 v[12:13], v[16:17], v[2:3]
	s_delay_alu instid0(VALU_DEP_1) | instskip(SKIP_1) | instid1(VALU_DEP_2)
	v_fma_f64 v[12:13], v[14:15], v[0:1], v[12:13]
	v_mul_f64_e32 v[0:1], v[16:17], v[0:1]
	v_add_f64_e64 v[114:115], v[8:9], -v[12:13]
	s_delay_alu instid0(VALU_DEP_2) | instskip(SKIP_4) | instid1(VALU_DEP_2)
	v_fma_f64 v[14:15], v[14:15], v[2:3], -v[0:1]
	ds_load_b128 v[0:3], v40 offset:48000
	s_wait_loadcnt_dscnt 0x300
	v_mul_f64_e32 v[16:17], v[20:21], v[2:3]
	v_add_f64_e64 v[110:111], v[10:11], -v[14:15]
	v_fma_f64 v[102:103], v[18:19], v[0:1], v[16:17]
	v_mul_f64_e32 v[0:1], v[20:21], v[0:1]
	s_delay_alu instid0(VALU_DEP_2) | instskip(NEXT) | instid1(VALU_DEP_2)
	v_add_f64_e64 v[116:117], v[4:5], -v[102:103]
	v_fma_f64 v[106:107], v[18:19], v[2:3], -v[0:1]
	scratch_load_b128 v[18:21], off, off offset:972 th:TH_LOAD_LU ; 16-byte Folded Reload
	ds_load_b128 v[0:3], v40 offset:14000
	v_add_f64_e64 v[112:113], v[6:7], -v[106:107]
	s_wait_loadcnt_dscnt 0x0
	v_mul_f64_e32 v[16:17], v[20:21], v[2:3]
	s_delay_alu instid0(VALU_DEP_1) | instskip(SKIP_1) | instid1(VALU_DEP_1)
	v_fma_f64 v[74:75], v[18:19], v[0:1], v[16:17]
	v_mul_f64_e32 v[0:1], v[20:21], v[0:1]
	v_fma_f64 v[72:73], v[18:19], v[2:3], -v[0:1]
	scratch_load_b128 v[18:21], off, off offset:988 th:TH_LOAD_LU ; 16-byte Folded Reload
	ds_load_b128 v[0:3], v40 offset:26000
	s_wait_loadcnt_dscnt 0x0
	v_mul_f64_e32 v[16:17], v[20:21], v[2:3]
	s_delay_alu instid0(VALU_DEP_1) | instskip(SKIP_1) | instid1(VALU_DEP_1)
	v_fma_f64 v[76:77], v[18:19], v[0:1], v[16:17]
	v_mul_f64_e32 v[0:1], v[20:21], v[0:1]
	v_fma_f64 v[78:79], v[18:19], v[2:3], -v[0:1]
	scratch_load_b128 v[18:21], off, off offset:1004 th:TH_LOAD_LU ; 16-byte Folded Reload
	ds_load_b128 v[0:3], v40 offset:38000
	;; [unrolled: 8-line block ×15, first 2 shown]
	s_wait_loadcnt_dscnt 0x0
	v_mul_f64_e32 v[16:17], v[20:21], v[2:3]
	s_delay_alu instid0(VALU_DEP_1) | instskip(SKIP_1) | instid1(VALU_DEP_1)
	v_fma_f64 v[46:47], v[18:19], v[0:1], v[16:17]
	v_mul_f64_e32 v[0:1], v[20:21], v[0:1]
	v_fma_f64 v[44:45], v[18:19], v[2:3], -v[0:1]
	ds_load_b128 v[0:3], v40 offset:22000
	s_wait_dscnt 0x0
	v_mul_f64_e32 v[16:17], v[24:25], v[2:3]
	s_delay_alu instid0(VALU_DEP_1) | instskip(SKIP_1) | instid1(VALU_DEP_1)
	v_fma_f64 v[20:21], v[22:23], v[0:1], v[16:17]
	v_mul_f64_e32 v[0:1], v[24:25], v[0:1]
	v_fma_f64 v[16:17], v[22:23], v[2:3], -v[0:1]
	scratch_load_b128 v[22:25], off, off offset:1344 th:TH_LOAD_LU ; 16-byte Folded Reload
	ds_load_b128 v[0:3], v40 offset:34000
	s_wait_loadcnt_dscnt 0x0
	v_mul_f64_e32 v[18:19], v[24:25], v[2:3]
	s_delay_alu instid0(VALU_DEP_1) | instskip(SKIP_1) | instid1(VALU_DEP_1)
	v_fma_f64 v[26:27], v[22:23], v[0:1], v[18:19]
	v_mul_f64_e32 v[0:1], v[24:25], v[0:1]
	v_fma_f64 v[18:19], v[22:23], v[2:3], -v[0:1]
	ds_load_b128 v[0:3], v40 offset:46000
	s_wait_dscnt 0x0
	v_mul_f64_e32 v[22:23], v[30:31], v[2:3]
	s_delay_alu instid0(VALU_DEP_1) | instskip(SKIP_1) | instid1(VALU_DEP_1)
	v_fma_f64 v[24:25], v[28:29], v[0:1], v[22:23]
	v_mul_f64_e32 v[0:1], v[30:31], v[0:1]
	v_fma_f64 v[22:23], v[28:29], v[2:3], -v[0:1]
	ds_load_b128 v[0:3], v40 offset:58000
	s_wait_dscnt 0x0
	v_mul_f64_e32 v[28:29], v[96:97], v[2:3]
	s_delay_alu instid0(VALU_DEP_1) | instskip(SKIP_1) | instid1(VALU_DEP_1)
	v_fma_f64 v[30:31], v[94:95], v[0:1], v[28:29]
	v_mul_f64_e32 v[0:1], v[96:97], v[0:1]
	v_fma_f64 v[28:29], v[94:95], v[2:3], -v[0:1]
	v_add_f64_e64 v[0:1], v[8:9], -v[4:5]
	v_add_f64_e64 v[2:3], v[12:13], -v[102:103]
	v_add_f64_e32 v[94:95], v[4:5], v[102:103]
	s_delay_alu instid0(VALU_DEP_2) | instskip(SKIP_2) | instid1(VALU_DEP_1)
	v_add_f64_e32 v[98:99], v[0:1], v[2:3]
	v_add_f64_e64 v[0:1], v[10:11], -v[6:7]
	v_add_f64_e64 v[2:3], v[14:15], -v[106:107]
	v_add_f64_e32 v[100:101], v[0:1], v[2:3]
	ds_load_b128 v[0:3], v40
	s_wait_dscnt 0x0
	v_fma_f64 v[104:105], v[94:95], -0.5, v[0:1]
	v_add_f64_e32 v[94:95], v[6:7], v[106:107]
	s_delay_alu instid0(VALU_DEP_1) | instskip(NEXT) | instid1(VALU_DEP_3)
	v_fma_f64 v[108:109], v[94:95], -0.5, v[2:3]
	v_fma_f64 v[94:95], v[110:111], s[16:17], v[104:105]
	v_fma_f64 v[104:105], v[110:111], s[18:19], v[104:105]
	s_delay_alu instid0(VALU_DEP_3) | instskip(NEXT) | instid1(VALU_DEP_3)
	v_fma_f64 v[96:97], v[114:115], s[18:19], v[108:109]
	v_fma_f64 v[94:95], v[112:113], s[14:15], v[94:95]
	;; [unrolled: 1-line block ×3, first 2 shown]
	s_delay_alu instid0(VALU_DEP_4) | instskip(NEXT) | instid1(VALU_DEP_4)
	v_fma_f64 v[104:105], v[112:113], s[12:13], v[104:105]
	v_fma_f64 v[96:97], v[116:117], s[12:13], v[96:97]
	s_delay_alu instid0(VALU_DEP_4) | instskip(NEXT) | instid1(VALU_DEP_4)
	v_fma_f64 v[94:95], v[98:99], s[20:21], v[94:95]
	v_fma_f64 v[108:109], v[116:117], s[14:15], v[108:109]
	s_delay_alu instid0(VALU_DEP_4) | instskip(SKIP_2) | instid1(VALU_DEP_4)
	v_fma_f64 v[98:99], v[98:99], s[20:21], v[104:105]
	v_add_f64_e32 v[104:105], v[8:9], v[12:13]
	v_fma_f64 v[96:97], v[100:101], s[20:21], v[96:97]
	v_fma_f64 v[100:101], v[100:101], s[20:21], v[108:109]
	s_delay_alu instid0(VALU_DEP_3) | instskip(SKIP_3) | instid1(VALU_DEP_3)
	v_fma_f64 v[108:109], v[104:105], -0.5, v[0:1]
	v_add_f64_e32 v[104:105], v[10:11], v[14:15]
	v_add_f64_e32 v[0:1], v[0:1], v[4:5]
	v_add_f64_e64 v[4:5], v[4:5], -v[8:9]
	v_fma_f64 v[118:119], v[104:105], -0.5, v[2:3]
	v_add_f64_e32 v[2:3], v[2:3], v[6:7]
	s_delay_alu instid0(VALU_DEP_4) | instskip(SKIP_2) | instid1(VALU_DEP_4)
	v_add_f64_e32 v[0:1], v[0:1], v[8:9]
	v_add_f64_e64 v[6:7], v[6:7], -v[10:11]
	v_add_f64_e64 v[8:9], v[102:103], -v[12:13]
	v_add_f64_e32 v[2:3], v[2:3], v[10:11]
	s_delay_alu instid0(VALU_DEP_4)
	v_add_f64_e32 v[0:1], v[0:1], v[12:13]
	v_fma_f64 v[10:11], v[112:113], s[16:17], v[108:109]
	v_fma_f64 v[12:13], v[116:117], s[16:17], v[118:119]
	v_add_f64_e32 v[4:5], v[4:5], v[8:9]
	v_add_f64_e32 v[2:3], v[2:3], v[14:15]
	;; [unrolled: 1-line block ×3, first 2 shown]
	v_add_f64_e64 v[0:1], v[106:107], -v[14:15]
	v_fma_f64 v[14:15], v[116:117], s[18:19], v[118:119]
	v_fma_f64 v[8:9], v[114:115], s[12:13], v[12:13]
	v_add_f64_e32 v[104:105], v[2:3], v[106:107]
	v_fma_f64 v[2:3], v[112:113], s[18:19], v[108:109]
	v_add_f64_e32 v[0:1], v[6:7], v[0:1]
	v_fma_f64 v[6:7], v[110:111], s[12:13], v[10:11]
	v_fma_f64 v[10:11], v[114:115], s[14:15], v[14:15]
	s_delay_alu instid0(VALU_DEP_4) | instskip(NEXT) | instid1(VALU_DEP_4)
	v_fma_f64 v[2:3], v[110:111], s[14:15], v[2:3]
	v_fma_f64 v[108:109], v[0:1], s[20:21], v[8:9]
	s_delay_alu instid0(VALU_DEP_4) | instskip(NEXT) | instid1(VALU_DEP_4)
	v_fma_f64 v[110:111], v[4:5], s[20:21], v[6:7]
	v_fma_f64 v[112:113], v[0:1], s[20:21], v[10:11]
	s_delay_alu instid0(VALU_DEP_4)
	v_fma_f64 v[106:107], v[4:5], s[20:21], v[2:3]
	ds_load_b128 v[0:3], v40 offset:10000
	ds_load_b128 v[114:117], v40 offset:2000
	;; [unrolled: 1-line block ×5, first 2 shown]
	global_wb scope:SCOPE_SE
	s_wait_dscnt 0x0
	s_barrier_signal -1
	s_barrier_wait -1
	global_inv scope:SCOPE_SE
	scratch_load_b32 v118, off, off offset:1552 th:TH_LOAD_LU ; 4-byte Folded Reload
	s_wait_loadcnt 0x0
	ds_store_b128 v118, v[102:105]
	ds_store_b128 v118, v[106:109] offset:240
	ds_store_b128 v118, v[94:97] offset:480
	;; [unrolled: 1-line block ×4, first 2 shown]
	v_add_f64_e64 v[94:95], v[76:77], -v[74:75]
	v_add_f64_e64 v[96:97], v[82:83], -v[84:85]
	;; [unrolled: 1-line block ×7, first 2 shown]
	v_add_f64_e32 v[98:99], v[94:95], v[96:97]
	v_add_f64_e64 v[94:95], v[78:79], -v[72:73]
	v_add_f64_e64 v[96:97], v[80:81], -v[86:87]
	s_delay_alu instid0(VALU_DEP_1) | instskip(SKIP_1) | instid1(VALU_DEP_1)
	v_add_f64_e32 v[100:101], v[94:95], v[96:97]
	v_add_f64_e32 v[94:95], v[74:75], v[84:85]
	v_fma_f64 v[102:103], v[94:95], -0.5, v[114:115]
	v_add_f64_e32 v[94:95], v[72:73], v[86:87]
	s_delay_alu instid0(VALU_DEP_1) | instskip(NEXT) | instid1(VALU_DEP_3)
	v_fma_f64 v[104:105], v[94:95], -0.5, v[116:117]
	v_fma_f64 v[94:95], v[106:107], s[16:17], v[102:103]
	v_fma_f64 v[102:103], v[106:107], s[18:19], v[102:103]
	s_delay_alu instid0(VALU_DEP_3) | instskip(NEXT) | instid1(VALU_DEP_3)
	v_fma_f64 v[96:97], v[110:111], s[18:19], v[104:105]
	v_fma_f64 v[94:95], v[108:109], s[14:15], v[94:95]
	;; [unrolled: 1-line block ×3, first 2 shown]
	s_delay_alu instid0(VALU_DEP_4) | instskip(NEXT) | instid1(VALU_DEP_4)
	v_fma_f64 v[102:103], v[108:109], s[12:13], v[102:103]
	v_fma_f64 v[96:97], v[112:113], s[12:13], v[96:97]
	s_delay_alu instid0(VALU_DEP_4) | instskip(NEXT) | instid1(VALU_DEP_4)
	v_fma_f64 v[94:95], v[98:99], s[20:21], v[94:95]
	v_fma_f64 v[104:105], v[112:113], s[14:15], v[104:105]
	s_delay_alu instid0(VALU_DEP_4) | instskip(SKIP_2) | instid1(VALU_DEP_4)
	v_fma_f64 v[98:99], v[98:99], s[20:21], v[102:103]
	v_add_f64_e32 v[102:103], v[76:77], v[82:83]
	v_fma_f64 v[96:97], v[100:101], s[20:21], v[96:97]
	v_fma_f64 v[100:101], v[100:101], s[20:21], v[104:105]
	v_add_f64_e32 v[104:105], v[78:79], v[80:81]
	s_delay_alu instid0(VALU_DEP_4) | instskip(SKIP_1) | instid1(VALU_DEP_3)
	v_fma_f64 v[102:103], v[102:103], -0.5, v[114:115]
	v_add_f64_e32 v[114:115], v[114:115], v[74:75]
	v_fma_f64 v[104:105], v[104:105], -0.5, v[116:117]
	v_add_f64_e32 v[116:117], v[116:117], v[72:73]
	s_delay_alu instid0(VALU_DEP_3) | instskip(NEXT) | instid1(VALU_DEP_2)
	v_add_f64_e32 v[74:75], v[114:115], v[76:77]
	v_add_f64_e32 v[76:77], v[116:117], v[78:79]
	v_add_f64_e64 v[78:79], v[72:73], -v[78:79]
	s_delay_alu instid0(VALU_DEP_3) | instskip(NEXT) | instid1(VALU_DEP_3)
	v_add_f64_e32 v[72:73], v[74:75], v[82:83]
	v_add_f64_e32 v[74:75], v[76:77], v[80:81]
	v_add_f64_e64 v[76:77], v[84:85], -v[82:83]
	s_delay_alu instid0(VALU_DEP_3)
	v_add_f64_e32 v[72:73], v[72:73], v[84:85]
	v_add_f64_e64 v[80:81], v[86:87], -v[80:81]
	v_fma_f64 v[84:85], v[108:109], s[16:17], v[102:103]
	v_fma_f64 v[82:83], v[108:109], s[18:19], v[102:103]
	;; [unrolled: 1-line block ×3, first 2 shown]
	v_add_f64_e32 v[74:75], v[74:75], v[86:87]
	v_fma_f64 v[86:87], v[112:113], s[16:17], v[104:105]
	v_add_f64_e32 v[104:105], v[118:119], v[76:77]
	v_add_f64_e32 v[108:109], v[78:79], v[80:81]
	v_fma_f64 v[80:81], v[106:107], s[12:13], v[84:85]
	scratch_load_b32 v84, off, off offset:1484 th:TH_LOAD_LU ; 4-byte Folded Reload
	v_fma_f64 v[76:77], v[106:107], s[14:15], v[82:83]
	v_fma_f64 v[82:83], v[110:111], s[14:15], v[102:103]
	;; [unrolled: 1-line block ×3, first 2 shown]
	v_add_f64_e64 v[86:87], v[52:53], -v[66:67]
	v_fma_f64 v[80:81], v[104:105], s[20:21], v[80:81]
	v_fma_f64 v[76:77], v[104:105], s[20:21], v[76:77]
	;; [unrolled: 1-line block ×4, first 2 shown]
	s_wait_loadcnt 0x0
	ds_store_b128 v84, v[72:75]
	ds_store_b128 v84, v[76:79] offset:240
	ds_store_b128 v84, v[94:97] offset:480
	;; [unrolled: 1-line block ×4, first 2 shown]
	v_add_f64_e64 v[72:73], v[56:57], -v[58:59]
	v_add_f64_e64 v[74:75], v[88:89], -v[64:65]
	;; [unrolled: 1-line block ×5, first 2 shown]
	s_delay_alu instid0(VALU_DEP_4) | instskip(SKIP_2) | instid1(VALU_DEP_1)
	v_add_f64_e32 v[76:77], v[72:73], v[74:75]
	v_add_f64_e64 v[72:73], v[70:71], -v[52:53]
	v_add_f64_e64 v[74:75], v[54:55], -v[66:67]
	v_add_f64_e32 v[78:79], v[72:73], v[74:75]
	v_add_f64_e32 v[72:73], v[58:59], v[64:65]
	s_delay_alu instid0(VALU_DEP_1) | instskip(SKIP_1) | instid1(VALU_DEP_1)
	v_fma_f64 v[80:81], v[72:73], -0.5, v[12:13]
	v_add_f64_e32 v[72:73], v[52:53], v[66:67]
	v_fma_f64 v[82:83], v[72:73], -0.5, v[14:15]
	s_delay_alu instid0(VALU_DEP_3) | instskip(SKIP_1) | instid1(VALU_DEP_3)
	v_fma_f64 v[72:73], v[84:85], s[16:17], v[80:81]
	v_fma_f64 v[80:81], v[84:85], s[18:19], v[80:81]
	;; [unrolled: 1-line block ×4, first 2 shown]
	s_delay_alu instid0(VALU_DEP_4) | instskip(NEXT) | instid1(VALU_DEP_4)
	v_fma_f64 v[72:73], v[86:87], s[14:15], v[72:73]
	v_fma_f64 v[80:81], v[86:87], s[12:13], v[80:81]
	s_delay_alu instid0(VALU_DEP_4) | instskip(NEXT) | instid1(VALU_DEP_4)
	v_fma_f64 v[74:75], v[96:97], s[12:13], v[74:75]
	v_fma_f64 v[82:83], v[96:97], s[14:15], v[82:83]
	;; [unrolled: 3-line block ×3, first 2 shown]
	v_add_f64_e32 v[80:81], v[56:57], v[88:89]
	v_fma_f64 v[74:75], v[78:79], s[20:21], v[74:75]
	v_fma_f64 v[78:79], v[78:79], s[20:21], v[82:83]
	v_add_f64_e32 v[82:83], v[70:71], v[54:55]
	s_delay_alu instid0(VALU_DEP_4) | instskip(SKIP_2) | instid1(VALU_DEP_4)
	v_fma_f64 v[80:81], v[80:81], -0.5, v[12:13]
	v_add_f64_e32 v[12:13], v[12:13], v[58:59]
	v_add_f64_e64 v[58:59], v[58:59], -v[56:57]
	v_fma_f64 v[82:83], v[82:83], -0.5, v[14:15]
	v_add_f64_e32 v[14:15], v[14:15], v[52:53]
	v_add_f64_e64 v[52:53], v[52:53], -v[70:71]
	v_add_f64_e32 v[12:13], v[12:13], v[56:57]
	v_add_f64_e64 v[56:57], v[64:65], -v[88:89]
	s_delay_alu instid0(VALU_DEP_4) | instskip(SKIP_1) | instid1(VALU_DEP_4)
	v_add_f64_e32 v[14:15], v[14:15], v[70:71]
	v_fma_f64 v[70:71], v[96:97], s[16:17], v[82:83]
	v_add_f64_e32 v[12:13], v[12:13], v[88:89]
	s_delay_alu instid0(VALU_DEP_4) | instskip(NEXT) | instid1(VALU_DEP_4)
	v_add_f64_e32 v[56:57], v[58:59], v[56:57]
	v_add_f64_e32 v[14:15], v[14:15], v[54:55]
	v_add_f64_e64 v[54:55], v[66:67], -v[54:55]
	s_delay_alu instid0(VALU_DEP_4) | instskip(SKIP_1) | instid1(VALU_DEP_4)
	v_add_f64_e32 v[12:13], v[12:13], v[64:65]
	v_fma_f64 v[64:65], v[86:87], s[18:19], v[80:81]
	v_add_f64_e32 v[14:15], v[14:15], v[66:67]
	v_fma_f64 v[66:67], v[86:87], s[16:17], v[80:81]
	v_add_f64_e32 v[58:59], v[52:53], v[54:55]
	s_delay_alu instid0(VALU_DEP_4)
	v_fma_f64 v[52:53], v[84:85], s[14:15], v[64:65]
	v_fma_f64 v[80:81], v[96:97], s[18:19], v[82:83]
	;; [unrolled: 1-line block ×3, first 2 shown]
	v_add_f64_e64 v[70:71], v[50:51], -v[90:91]
	v_fma_f64 v[64:65], v[84:85], s[12:13], v[66:67]
	v_fma_f64 v[52:53], v[56:57], s[20:21], v[52:53]
	;; [unrolled: 1-line block ×4, first 2 shown]
	s_delay_alu instid0(VALU_DEP_4)
	v_fma_f64 v[56:57], v[56:57], s[20:21], v[64:65]
	scratch_load_b32 v64, off, off offset:1480 th:TH_LOAD_LU ; 4-byte Folded Reload
	v_fma_f64 v[58:59], v[58:59], s[20:21], v[66:67]
	s_wait_loadcnt 0x0
	ds_store_b128 v64, v[12:15]
	ds_store_b128 v64, v[52:55] offset:240
	ds_store_b128 v64, v[72:75] offset:480
	ds_store_b128 v64, v[76:79] offset:720
	ds_store_b128 v64, v[56:59] offset:960
	v_add_f64_e64 v[12:13], v[50:51], -v[62:63]
	v_add_f64_e64 v[14:15], v[90:91], -v[216:217]
	;; [unrolled: 1-line block ×5, first 2 shown]
	s_delay_alu instid0(VALU_DEP_4) | instskip(SKIP_2) | instid1(VALU_DEP_1)
	v_add_f64_e32 v[52:53], v[12:13], v[14:15]
	v_add_f64_e64 v[12:13], v[60:61], -v[48:49]
	v_add_f64_e64 v[14:15], v[68:69], -v[254:255]
	v_add_f64_e32 v[54:55], v[12:13], v[14:15]
	v_add_f64_e32 v[12:13], v[62:63], v[216:217]
	s_delay_alu instid0(VALU_DEP_1) | instskip(SKIP_1) | instid1(VALU_DEP_1)
	v_fma_f64 v[56:57], v[12:13], -0.5, v[8:9]
	v_add_f64_e32 v[12:13], v[48:49], v[254:255]
	v_fma_f64 v[58:59], v[12:13], -0.5, v[10:11]
	s_delay_alu instid0(VALU_DEP_3) | instskip(SKIP_1) | instid1(VALU_DEP_3)
	v_fma_f64 v[12:13], v[64:65], s[16:17], v[56:57]
	v_fma_f64 v[56:57], v[64:65], s[18:19], v[56:57]
	;; [unrolled: 1-line block ×4, first 2 shown]
	s_delay_alu instid0(VALU_DEP_4) | instskip(NEXT) | instid1(VALU_DEP_4)
	v_fma_f64 v[12:13], v[66:67], s[14:15], v[12:13]
	v_fma_f64 v[56:57], v[66:67], s[12:13], v[56:57]
	s_delay_alu instid0(VALU_DEP_4) | instskip(NEXT) | instid1(VALU_DEP_4)
	v_fma_f64 v[14:15], v[72:73], s[12:13], v[14:15]
	v_fma_f64 v[58:59], v[72:73], s[14:15], v[58:59]
	;; [unrolled: 3-line block ×3, first 2 shown]
	v_add_f64_e32 v[56:57], v[50:51], v[90:91]
	v_fma_f64 v[14:15], v[54:55], s[20:21], v[14:15]
	v_fma_f64 v[54:55], v[54:55], s[20:21], v[58:59]
	v_add_f64_e32 v[58:59], v[60:61], v[68:69]
	s_delay_alu instid0(VALU_DEP_4) | instskip(SKIP_2) | instid1(VALU_DEP_4)
	v_fma_f64 v[56:57], v[56:57], -0.5, v[8:9]
	v_add_f64_e32 v[8:9], v[8:9], v[62:63]
	v_add_f64_e64 v[62:63], v[62:63], -v[50:51]
	v_fma_f64 v[58:59], v[58:59], -0.5, v[10:11]
	v_add_f64_e32 v[10:11], v[10:11], v[48:49]
	v_add_f64_e64 v[48:49], v[48:49], -v[60:61]
	v_add_f64_e32 v[8:9], v[8:9], v[50:51]
	v_add_f64_e64 v[50:51], v[216:217], -v[90:91]
	s_delay_alu instid0(VALU_DEP_4) | instskip(SKIP_1) | instid1(VALU_DEP_4)
	v_add_f64_e32 v[10:11], v[10:11], v[60:61]
	v_add_f64_e64 v[60:61], v[254:255], -v[68:69]
	v_add_f64_e32 v[8:9], v[8:9], v[90:91]
	s_delay_alu instid0(VALU_DEP_4) | instskip(NEXT) | instid1(VALU_DEP_4)
	v_add_f64_e32 v[62:63], v[62:63], v[50:51]
	v_add_f64_e32 v[10:11], v[10:11], v[68:69]
	v_fma_f64 v[68:69], v[66:67], s[18:19], v[56:57]
	v_fma_f64 v[56:57], v[66:67], s[16:17], v[56:57]
	;; [unrolled: 1-line block ×4, first 2 shown]
	v_add_f64_e32 v[60:61], v[48:49], v[60:61]
	v_add_f64_e32 v[8:9], v[8:9], v[216:217]
	;; [unrolled: 1-line block ×3, first 2 shown]
	v_fma_f64 v[48:49], v[64:65], s[14:15], v[68:69]
	v_fma_f64 v[56:57], v[64:65], s[12:13], v[56:57]
	;; [unrolled: 1-line block ×4, first 2 shown]
	s_delay_alu instid0(VALU_DEP_4) | instskip(NEXT) | instid1(VALU_DEP_4)
	v_fma_f64 v[48:49], v[62:63], s[20:21], v[48:49]
	v_fma_f64 v[56:57], v[62:63], s[20:21], v[56:57]
	s_delay_alu instid0(VALU_DEP_4) | instskip(NEXT) | instid1(VALU_DEP_4)
	v_fma_f64 v[50:51], v[60:61], s[20:21], v[50:51]
	v_fma_f64 v[58:59], v[60:61], s[20:21], v[58:59]
	scratch_load_b32 v60, off, off offset:1460 th:TH_LOAD_LU ; 4-byte Folded Reload
	s_wait_loadcnt 0x0
	ds_store_b128 v60, v[8:11]
	ds_store_b128 v60, v[48:51] offset:240
	ds_store_b128 v60, v[12:15] offset:480
	;; [unrolled: 1-line block ×4, first 2 shown]
	v_add_f64_e64 v[8:9], v[42:43], -v[36:37]
	v_add_f64_e64 v[10:11], v[92:93], -v[46:47]
	;; [unrolled: 1-line block ×6, first 2 shown]
	v_add_f64_e32 v[12:13], v[8:9], v[10:11]
	v_add_f64_e64 v[8:9], v[34:35], -v[32:33]
	v_add_f64_e64 v[10:11], v[38:39], -v[44:45]
	s_delay_alu instid0(VALU_DEP_1) | instskip(SKIP_2) | instid1(VALU_DEP_2)
	v_add_f64_e32 v[14:15], v[8:9], v[10:11]
	v_add_f64_e32 v[8:9], v[36:37], v[46:47]
	;; [unrolled: 1-line block ×3, first 2 shown]
	v_fma_f64 v[48:49], v[8:9], -0.5, v[4:5]
	s_delay_alu instid0(VALU_DEP_2) | instskip(NEXT) | instid1(VALU_DEP_2)
	v_fma_f64 v[54:55], v[10:11], -0.5, v[6:7]
	v_fma_f64 v[8:9], v[50:51], s[16:17], v[48:49]
	v_fma_f64 v[48:49], v[50:51], s[18:19], v[48:49]
	s_delay_alu instid0(VALU_DEP_3) | instskip(SKIP_1) | instid1(VALU_DEP_4)
	v_fma_f64 v[10:11], v[56:57], s[18:19], v[54:55]
	v_fma_f64 v[54:55], v[56:57], s[16:17], v[54:55]
	;; [unrolled: 1-line block ×3, first 2 shown]
	s_delay_alu instid0(VALU_DEP_4) | instskip(NEXT) | instid1(VALU_DEP_4)
	v_fma_f64 v[48:49], v[52:53], s[12:13], v[48:49]
	v_fma_f64 v[10:11], v[58:59], s[12:13], v[10:11]
	s_delay_alu instid0(VALU_DEP_4) | instskip(NEXT) | instid1(VALU_DEP_4)
	v_fma_f64 v[54:55], v[58:59], s[14:15], v[54:55]
	v_fma_f64 v[8:9], v[12:13], s[20:21], v[8:9]
	s_delay_alu instid0(VALU_DEP_4) | instskip(SKIP_4) | instid1(VALU_DEP_4)
	v_fma_f64 v[12:13], v[12:13], s[20:21], v[48:49]
	v_add_f64_e32 v[48:49], v[42:43], v[92:93]
	v_fma_f64 v[10:11], v[14:15], s[20:21], v[10:11]
	v_fma_f64 v[14:15], v[14:15], s[20:21], v[54:55]
	v_add_f64_e32 v[54:55], v[34:35], v[38:39]
	v_fma_f64 v[48:49], v[48:49], -0.5, v[4:5]
	v_add_f64_e32 v[4:5], v[4:5], v[36:37]
	v_add_f64_e64 v[36:37], v[36:37], -v[42:43]
	s_delay_alu instid0(VALU_DEP_4)
	v_fma_f64 v[54:55], v[54:55], -0.5, v[6:7]
	v_add_f64_e32 v[6:7], v[6:7], v[32:33]
	v_add_f64_e64 v[32:33], v[32:33], -v[34:35]
	v_add_f64_e32 v[4:5], v[4:5], v[42:43]
	v_fma_f64 v[42:43], v[52:53], s[18:19], v[48:49]
	v_fma_f64 v[48:49], v[52:53], s[16:17], v[48:49]
	v_add_f64_e64 v[52:53], v[46:47], -v[92:93]
	v_add_f64_e32 v[6:7], v[6:7], v[34:35]
	v_add_f64_e64 v[34:35], v[44:45], -v[38:39]
	v_add_f64_e32 v[4:5], v[4:5], v[92:93]
	v_fma_f64 v[42:43], v[50:51], s[14:15], v[42:43]
	v_add_f64_e32 v[36:37], v[36:37], v[52:53]
	v_add_f64_e32 v[6:7], v[6:7], v[38:39]
	v_fma_f64 v[38:39], v[58:59], s[16:17], v[54:55]
	v_add_f64_e32 v[4:5], v[4:5], v[46:47]
	v_fma_f64 v[46:47], v[50:51], s[12:13], v[48:49]
	;; [unrolled: 2-line block ×3, first 2 shown]
	scratch_load_b32 v42, off, off offset:1392 th:TH_LOAD_LU ; 4-byte Folded Reload
	v_add_f64_e32 v[6:7], v[6:7], v[44:45]
	v_fma_f64 v[44:45], v[58:59], s[18:19], v[54:55]
	v_fma_f64 v[34:35], v[56:57], s[12:13], v[38:39]
	;; [unrolled: 1-line block ×3, first 2 shown]
	s_delay_alu instid0(VALU_DEP_3) | instskip(NEXT) | instid1(VALU_DEP_3)
	v_fma_f64 v[38:39], v[56:57], s[14:15], v[44:45]
	v_fma_f64 v[34:35], v[48:49], s[20:21], v[34:35]
	s_delay_alu instid0(VALU_DEP_2)
	v_fma_f64 v[38:39], v[48:49], s[20:21], v[38:39]
	s_wait_loadcnt 0x0
	ds_store_b128 v42, v[4:7]
	ds_store_b128 v42, v[32:35] offset:240
	ds_store_b128 v42, v[8:11] offset:480
	;; [unrolled: 1-line block ×4, first 2 shown]
	v_add_f64_e64 v[4:5], v[26:27], -v[20:21]
	v_add_f64_e64 v[6:7], v[24:25], -v[30:31]
	;; [unrolled: 1-line block ×6, first 2 shown]
	v_add_f64_e32 v[8:9], v[4:5], v[6:7]
	v_add_f64_e64 v[4:5], v[18:19], -v[16:17]
	v_add_f64_e64 v[6:7], v[22:23], -v[28:29]
	s_delay_alu instid0(VALU_DEP_1) | instskip(SKIP_2) | instid1(VALU_DEP_2)
	v_add_f64_e32 v[10:11], v[4:5], v[6:7]
	v_add_f64_e32 v[4:5], v[20:21], v[30:31]
	;; [unrolled: 1-line block ×3, first 2 shown]
	v_fma_f64 v[12:13], v[4:5], -0.5, v[0:1]
	s_delay_alu instid0(VALU_DEP_2) | instskip(NEXT) | instid1(VALU_DEP_2)
	v_fma_f64 v[34:35], v[6:7], -0.5, v[2:3]
	v_fma_f64 v[4:5], v[14:15], s[16:17], v[12:13]
	v_fma_f64 v[12:13], v[14:15], s[18:19], v[12:13]
	s_delay_alu instid0(VALU_DEP_3) | instskip(SKIP_1) | instid1(VALU_DEP_4)
	v_fma_f64 v[6:7], v[36:37], s[18:19], v[34:35]
	v_fma_f64 v[34:35], v[36:37], s[16:17], v[34:35]
	;; [unrolled: 1-line block ×3, first 2 shown]
	s_delay_alu instid0(VALU_DEP_4) | instskip(NEXT) | instid1(VALU_DEP_4)
	v_fma_f64 v[12:13], v[32:33], s[12:13], v[12:13]
	v_fma_f64 v[6:7], v[38:39], s[12:13], v[6:7]
	s_delay_alu instid0(VALU_DEP_4) | instskip(NEXT) | instid1(VALU_DEP_4)
	v_fma_f64 v[34:35], v[38:39], s[14:15], v[34:35]
	v_fma_f64 v[4:5], v[8:9], s[20:21], v[4:5]
	s_delay_alu instid0(VALU_DEP_4) | instskip(SKIP_4) | instid1(VALU_DEP_4)
	v_fma_f64 v[8:9], v[8:9], s[20:21], v[12:13]
	v_add_f64_e32 v[12:13], v[26:27], v[24:25]
	v_fma_f64 v[6:7], v[10:11], s[20:21], v[6:7]
	v_fma_f64 v[10:11], v[10:11], s[20:21], v[34:35]
	v_add_f64_e32 v[34:35], v[18:19], v[22:23]
	v_fma_f64 v[12:13], v[12:13], -0.5, v[0:1]
	v_add_f64_e32 v[0:1], v[0:1], v[20:21]
	v_add_f64_e64 v[20:21], v[20:21], -v[26:27]
	s_delay_alu instid0(VALU_DEP_4)
	v_fma_f64 v[34:35], v[34:35], -0.5, v[2:3]
	v_add_f64_e32 v[2:3], v[2:3], v[16:17]
	v_add_f64_e64 v[16:17], v[16:17], -v[18:19]
	v_add_f64_e32 v[0:1], v[0:1], v[26:27]
	v_fma_f64 v[26:27], v[32:33], s[18:19], v[12:13]
	v_fma_f64 v[12:13], v[32:33], s[16:17], v[12:13]
	v_add_f64_e32 v[2:3], v[2:3], v[18:19]
	v_add_f64_e64 v[18:19], v[28:29], -v[22:23]
	v_add_f64_e32 v[0:1], v[0:1], v[24:25]
	v_add_f64_e64 v[24:25], v[30:31], -v[24:25]
	s_delay_alu instid0(VALU_DEP_4) | instskip(NEXT) | instid1(VALU_DEP_4)
	v_add_f64_e32 v[2:3], v[2:3], v[22:23]
	v_add_f64_e32 v[18:19], v[16:17], v[18:19]
	v_fma_f64 v[22:23], v[38:39], s[16:17], v[34:35]
	v_add_f64_e32 v[0:1], v[0:1], v[30:31]
	v_add_f64_e32 v[20:21], v[20:21], v[24:25]
	v_fma_f64 v[24:25], v[14:15], s[14:15], v[26:27]
	v_fma_f64 v[26:27], v[14:15], s[12:13], v[12:13]
	v_add_f64_e32 v[2:3], v[2:3], v[28:29]
	v_fma_f64 v[28:29], v[38:39], s[18:19], v[34:35]
	v_fma_f64 v[14:15], v[36:37], s[12:13], v[22:23]
	v_fma_f64 v[12:13], v[20:21], s[20:21], v[24:25]
	v_fma_f64 v[16:17], v[20:21], s[20:21], v[26:27]
	scratch_load_b32 v20, off, off offset:1204 th:TH_LOAD_LU ; 4-byte Folded Reload
	v_fma_f64 v[22:23], v[36:37], s[14:15], v[28:29]
	v_fma_f64 v[14:15], v[18:19], s[20:21], v[14:15]
	s_delay_alu instid0(VALU_DEP_2)
	v_fma_f64 v[18:19], v[18:19], s[20:21], v[22:23]
	s_wait_loadcnt 0x0
	ds_store_b128 v20, v[0:3]
	ds_store_b128 v20, v[12:15] offset:240
	ds_store_b128 v20, v[4:7] offset:480
	;; [unrolled: 1-line block ×4, first 2 shown]
	global_wb scope:SCOPE_SE
	s_wait_dscnt 0x0
	s_barrier_signal -1
	s_barrier_wait -1
	global_inv scope:SCOPE_SE
	scratch_load_b128 v[6:9], off, off offset:1256 th:TH_LOAD_LU ; 16-byte Folded Reload
	ds_load_b128 v[0:3], v40 offset:6000
	s_wait_loadcnt_dscnt 0x0
	v_mul_f64_e32 v[4:5], v[8:9], v[2:3]
	s_delay_alu instid0(VALU_DEP_1) | instskip(SKIP_1) | instid1(VALU_DEP_1)
	v_fma_f64 v[58:59], v[6:7], v[0:1], v[4:5]
	v_mul_f64_e32 v[0:1], v[8:9], v[0:1]
	v_fma_f64 v[60:61], v[6:7], v[2:3], -v[0:1]
	scratch_load_b128 v[6:9], off, off offset:1276 th:TH_LOAD_LU ; 16-byte Folded Reload
	ds_load_b128 v[0:3], v40 offset:12000
	s_wait_loadcnt_dscnt 0x0
	v_mul_f64_e32 v[4:5], v[8:9], v[2:3]
	s_delay_alu instid0(VALU_DEP_1) | instskip(SKIP_1) | instid1(VALU_DEP_1)
	v_fma_f64 v[62:63], v[6:7], v[0:1], v[4:5]
	v_mul_f64_e32 v[0:1], v[8:9], v[0:1]
	v_fma_f64 v[64:65], v[6:7], v[2:3], -v[0:1]
	;; [unrolled: 8-line block ×5, first 2 shown]
	scratch_load_b128 v[6:9], off, off offset:1412 th:TH_LOAD_LU ; 16-byte Folded Reload
	ds_load_b128 v[0:3], v40 offset:36000
	s_wait_loadcnt_dscnt 0x0
	v_mul_f64_e32 v[4:5], v[8:9], v[2:3]
	s_delay_alu instid0(VALU_DEP_1) | instskip(SKIP_1) | instid1(VALU_DEP_2)
	v_fma_f64 v[78:79], v[6:7], v[0:1], v[4:5]
	v_mul_f64_e32 v[0:1], v[8:9], v[0:1]
	v_add_f64_e64 v[124:125], v[70:71], -v[78:79]
	s_delay_alu instid0(VALU_DEP_2)
	v_fma_f64 v[80:81], v[6:7], v[2:3], -v[0:1]
	scratch_load_b128 v[6:9], off, off offset:1428 th:TH_LOAD_LU ; 16-byte Folded Reload
	ds_load_b128 v[0:3], v40 offset:42000
	v_add_f64_e64 v[120:121], v[72:73], -v[80:81]
	s_wait_loadcnt_dscnt 0x0
	v_mul_f64_e32 v[4:5], v[8:9], v[2:3]
	s_delay_alu instid0(VALU_DEP_1) | instskip(SKIP_1) | instid1(VALU_DEP_2)
	v_fma_f64 v[82:83], v[6:7], v[0:1], v[4:5]
	v_mul_f64_e32 v[0:1], v[8:9], v[0:1]
	v_add_f64_e64 v[112:113], v[74:75], -v[82:83]
	s_delay_alu instid0(VALU_DEP_2)
	v_fma_f64 v[84:85], v[6:7], v[2:3], -v[0:1]
	scratch_load_b128 v[6:9], off, off offset:1444 th:TH_LOAD_LU ; 16-byte Folded Reload
	ds_load_b128 v[0:3], v40 offset:48000
	v_add_f64_e64 v[116:117], v[76:77], -v[84:85]
	s_wait_loadcnt_dscnt 0x0
	v_mul_f64_e32 v[4:5], v[8:9], v[2:3]
	s_delay_alu instid0(VALU_DEP_1) | instskip(SKIP_1) | instid1(VALU_DEP_2)
	v_fma_f64 v[86:87], v[6:7], v[0:1], v[4:5]
	v_mul_f64_e32 v[0:1], v[8:9], v[0:1]
	v_add_f64_e64 v[122:123], v[62:63], -v[86:87]
	s_delay_alu instid0(VALU_DEP_2)
	v_fma_f64 v[88:89], v[6:7], v[2:3], -v[0:1]
	scratch_load_b128 v[6:9], off, off offset:1464 th:TH_LOAD_LU ; 16-byte Folded Reload
	ds_load_b128 v[0:3], v40 offset:54000
	v_add_f64_e64 v[50:51], v[88:89], -v[80:81]
	v_add_f64_e64 v[118:119], v[64:65], -v[88:89]
	s_wait_loadcnt_dscnt 0x0
	v_mul_f64_e32 v[4:5], v[8:9], v[2:3]
	s_delay_alu instid0(VALU_DEP_1) | instskip(SKIP_1) | instid1(VALU_DEP_2)
	v_fma_f64 v[90:91], v[6:7], v[0:1], v[4:5]
	v_mul_f64_e32 v[0:1], v[8:9], v[0:1]
	v_add_f64_e64 v[52:53], v[90:91], -v[82:83]
	s_delay_alu instid0(VALU_DEP_2)
	v_fma_f64 v[92:93], v[6:7], v[2:3], -v[0:1]
	ds_load_b128 v[0:3], v40 offset:8000
	scratch_load_b128 v[6:9], off, off offset:1488 th:TH_LOAD_LU ; 16-byte Folded Reload
	v_add_f64_e64 v[110:111], v[66:67], -v[90:91]
	s_wait_dscnt 0x0
	v_mul_f64_e32 v[4:5], v[214:215], v[2:3]
	v_add_f64_e64 v[114:115], v[68:69], -v[92:93]
	s_delay_alu instid0(VALU_DEP_2) | instskip(SKIP_1) | instid1(VALU_DEP_1)
	v_fma_f64 v[216:217], v[212:213], v[0:1], v[4:5]
	v_mul_f64_e32 v[0:1], v[214:215], v[0:1]
	v_fma_f64 v[212:213], v[212:213], v[2:3], -v[0:1]
	ds_load_b128 v[0:3], v40 offset:14000
	s_wait_dscnt 0x0
	v_mul_f64_e32 v[4:5], v[210:211], v[2:3]
	s_delay_alu instid0(VALU_DEP_1) | instskip(SKIP_1) | instid1(VALU_DEP_1)
	v_fma_f64 v[214:215], v[208:209], v[0:1], v[4:5]
	v_mul_f64_e32 v[0:1], v[210:211], v[0:1]
	v_fma_f64 v[208:209], v[208:209], v[2:3], -v[0:1]
	ds_load_b128 v[0:3], v40 offset:20000
	s_wait_dscnt 0x0
	v_mul_f64_e32 v[4:5], v[206:207], v[2:3]
	s_delay_alu instid0(VALU_DEP_1) | instskip(SKIP_1) | instid1(VALU_DEP_1)
	;; [unrolled: 7-line block ×8, first 2 shown]
	v_fma_f64 v[186:187], v[180:181], v[0:1], v[4:5]
	v_mul_f64_e32 v[0:1], v[182:183], v[0:1]
	v_fma_f64 v[180:181], v[180:181], v[2:3], -v[0:1]
	ds_load_b128 v[0:3], v40 offset:10000
	s_wait_loadcnt_dscnt 0x0
	v_mul_f64_e32 v[4:5], v[8:9], v[2:3]
	s_delay_alu instid0(VALU_DEP_1) | instskip(SKIP_1) | instid1(VALU_DEP_1)
	v_fma_f64 v[12:13], v[6:7], v[0:1], v[4:5]
	v_mul_f64_e32 v[0:1], v[8:9], v[0:1]
	v_fma_f64 v[14:15], v[6:7], v[2:3], -v[0:1]
	scratch_load_b128 v[6:9], off, off offset:1504 th:TH_LOAD_LU ; 16-byte Folded Reload
	ds_load_b128 v[0:3], v40 offset:16000
	s_wait_loadcnt_dscnt 0x0
	v_mul_f64_e32 v[4:5], v[8:9], v[2:3]
	s_delay_alu instid0(VALU_DEP_1) | instskip(SKIP_1) | instid1(VALU_DEP_1)
	v_fma_f64 v[18:19], v[6:7], v[0:1], v[4:5]
	v_mul_f64_e32 v[0:1], v[8:9], v[0:1]
	v_fma_f64 v[20:21], v[6:7], v[2:3], -v[0:1]
	scratch_load_b128 v[6:9], off, off offset:1520 th:TH_LOAD_LU ; 16-byte Folded Reload
	;; [unrolled: 8-line block ×8, first 2 shown]
	ds_load_b128 v[0:3], v40 offset:58000
	s_wait_loadcnt_dscnt 0x0
	v_mul_f64_e32 v[4:5], v[8:9], v[2:3]
	s_delay_alu instid0(VALU_DEP_1) | instskip(SKIP_2) | instid1(VALU_DEP_2)
	v_fma_f64 v[46:47], v[6:7], v[0:1], v[4:5]
	v_mul_f64_e32 v[0:1], v[8:9], v[0:1]
	v_add_f64_e32 v[4:5], v[70:71], v[78:79]
	v_fma_f64 v[48:49], v[6:7], v[2:3], -v[0:1]
	ds_load_b128 v[0:3], v40
	v_add_f64_e32 v[6:7], v[60:61], v[68:69]
	s_wait_dscnt 0x0
	v_fma_f64 v[94:95], v[4:5], -0.5, v[0:1]
	v_add_f64_e32 v[4:5], v[62:63], v[86:87]
	s_delay_alu instid0(VALU_DEP_3) | instskip(NEXT) | instid1(VALU_DEP_2)
	v_add_f64_e32 v[6:7], v[6:7], v[76:77]
	v_fma_f64 v[96:97], v[4:5], -0.5, v[0:1]
	v_add_f64_e32 v[4:5], v[72:73], v[80:81]
	v_add_f64_e32 v[0:1], v[0:1], v[62:63]
	s_delay_alu instid0(VALU_DEP_4) | instskip(NEXT) | instid1(VALU_DEP_3)
	v_add_f64_e32 v[6:7], v[6:7], v[84:85]
	v_fma_f64 v[98:99], v[4:5], -0.5, v[2:3]
	v_add_f64_e32 v[4:5], v[64:65], v[88:89]
	s_delay_alu instid0(VALU_DEP_4) | instskip(NEXT) | instid1(VALU_DEP_4)
	v_add_f64_e32 v[0:1], v[0:1], v[70:71]
	v_add_f64_e32 v[10:11], v[6:7], v[92:93]
	s_delay_alu instid0(VALU_DEP_3) | instskip(SKIP_3) | instid1(VALU_DEP_3)
	v_fma_f64 v[100:101], v[4:5], -0.5, v[2:3]
	v_add_f64_e32 v[2:3], v[2:3], v[64:65]
	v_add_f64_e32 v[4:5], v[58:59], v[66:67]
	;; [unrolled: 1-line block ×4, first 2 shown]
	s_delay_alu instid0(VALU_DEP_3) | instskip(NEXT) | instid1(VALU_DEP_3)
	v_add_f64_e32 v[4:5], v[4:5], v[74:75]
	v_add_f64_e32 v[0:1], v[0:1], v[86:87]
	s_delay_alu instid0(VALU_DEP_3) | instskip(NEXT) | instid1(VALU_DEP_3)
	v_add_f64_e32 v[2:3], v[2:3], v[80:81]
	v_add_f64_e32 v[4:5], v[4:5], v[82:83]
	s_delay_alu instid0(VALU_DEP_2) | instskip(NEXT) | instid1(VALU_DEP_2)
	v_add_f64_e32 v[2:3], v[2:3], v[88:89]
	v_add_f64_e32 v[8:9], v[4:5], v[90:91]
	s_delay_alu instid0(VALU_DEP_2) | instskip(NEXT) | instid1(VALU_DEP_2)
	v_add_f64_e32 v[6:7], v[2:3], v[10:11]
	v_add_f64_e32 v[4:5], v[0:1], v[8:9]
	v_add_f64_e64 v[8:9], v[0:1], -v[8:9]
	v_add_f64_e64 v[10:11], v[2:3], -v[10:11]
	;; [unrolled: 1-line block ×7, first 2 shown]
	s_delay_alu instid0(VALU_DEP_4)
	v_add_f64_e32 v[0:1], v[0:1], v[2:3]
	v_add_f64_e64 v[2:3], v[64:65], -v[72:73]
	v_add_f64_e64 v[64:65], v[72:73], -v[64:65]
	;; [unrolled: 1-line block ×4, first 2 shown]
	v_add_f64_e32 v[70:71], v[62:63], v[70:71]
	v_add_f64_e32 v[2:3], v[2:3], v[50:51]
	v_add_f64_e64 v[50:51], v[66:67], -v[74:75]
	v_add_f64_e32 v[72:73], v[64:65], v[72:73]
	s_delay_alu instid0(VALU_DEP_2) | instskip(SKIP_2) | instid1(VALU_DEP_1)
	v_add_f64_e32 v[102:103], v[50:51], v[52:53]
	v_add_f64_e64 v[50:51], v[68:69], -v[76:77]
	v_add_f64_e64 v[52:53], v[92:93], -v[84:85]
	v_add_f64_e32 v[104:105], v[50:51], v[52:53]
	v_add_f64_e32 v[50:51], v[74:75], v[82:83]
	v_add_f64_e64 v[74:75], v[74:75], -v[66:67]
	v_add_f64_e32 v[66:67], v[66:67], v[90:91]
	v_add_f64_e64 v[90:91], v[210:211], -v[186:187]
	s_delay_alu instid0(VALU_DEP_4)
	v_fma_f64 v[106:107], v[50:51], -0.5, v[58:59]
	v_add_f64_e32 v[50:51], v[76:77], v[84:85]
	v_add_f64_e64 v[76:77], v[76:77], -v[68:69]
	v_add_f64_e32 v[68:69], v[68:69], v[92:93]
	v_fma_f64 v[66:67], v[66:67], -0.5, v[58:59]
	v_add_f64_e32 v[74:75], v[74:75], v[78:79]
	v_add_f64_e64 v[92:93], v[202:203], -v[194:195]
	v_fma_f64 v[52:53], v[114:115], s[18:19], v[106:107]
	v_fma_f64 v[108:109], v[50:51], -0.5, v[60:61]
	v_add_f64_e32 v[76:77], v[76:77], v[80:81]
	v_fma_f64 v[68:69], v[68:69], -0.5, v[60:61]
	v_fma_f64 v[60:61], v[116:117], s[16:17], v[66:67]
	v_fma_f64 v[66:67], v[116:117], s[18:19], v[66:67]
	;; [unrolled: 1-line block ×16, first 2 shown]
	s_delay_alu instid0(VALU_DEP_4) | instskip(NEXT) | instid1(VALU_DEP_3)
	v_fma_f64 v[68:69], v[76:77], s[20:21], v[68:69]
	v_mul_f64_e32 v[54:55], s[14:15], v[50:51]
	v_mul_f64_e32 v[50:51], s[26:27], v[50:51]
	s_delay_alu instid0(VALU_DEP_4)
	v_mul_f64_e32 v[62:63], s[18:19], v[58:59]
	v_mul_f64_e32 v[58:59], s[20:21], v[58:59]
	;; [unrolled: 1-line block ×4, first 2 shown]
	v_fma_f64 v[54:55], v[52:53], s[26:27], v[54:55]
	v_fma_f64 v[56:57], v[52:53], s[12:13], v[50:51]
	;; [unrolled: 1-line block ×12, first 2 shown]
	s_delay_alu instid0(VALU_DEP_4) | instskip(NEXT) | instid1(VALU_DEP_4)
	v_fma_f64 v[50:51], v[120:121], s[14:15], v[50:51]
	v_fma_f64 v[52:53], v[124:125], s[12:13], v[52:53]
	s_delay_alu instid0(VALU_DEP_4) | instskip(NEXT) | instid1(VALU_DEP_4)
	v_fma_f64 v[78:79], v[70:71], s[20:21], v[58:59]
	v_fma_f64 v[80:81], v[72:73], s[20:21], v[60:61]
	;; [unrolled: 3-line block ×3, first 2 shown]
	s_delay_alu instid0(VALU_DEP_4)
	v_add_f64_e32 v[58:59], v[78:79], v[62:63]
	v_add_f64_e64 v[62:63], v[78:79], -v[62:63]
	v_fma_f64 v[78:79], v[120:121], s[18:19], v[96:97]
	v_add_f64_e32 v[60:61], v[80:81], v[64:65]
	v_add_f64_e64 v[64:65], v[80:81], -v[64:65]
	v_fma_f64 v[80:81], v[114:115], s[16:17], v[106:107]
	v_add_f64_e32 v[50:51], v[126:127], v[54:55]
	v_add_f64_e32 v[52:53], v[128:129], v[56:57]
	v_add_f64_e64 v[54:55], v[126:127], -v[54:55]
	v_add_f64_e64 v[56:57], v[128:129], -v[56:57]
	v_add_f64_e64 v[96:97], v[196:197], -v[188:189]
	v_add_f64_e64 v[106:107], v[194:195], -v[186:187]
	v_fma_f64 v[78:79], v[118:119], s[12:13], v[78:79]
	v_fma_f64 v[80:81], v[116:117], s[12:13], v[80:81]
	s_delay_alu instid0(VALU_DEP_2) | instskip(SKIP_2) | instid1(VALU_DEP_3)
	v_fma_f64 v[70:71], v[70:71], s[20:21], v[78:79]
	v_fma_f64 v[78:79], v[124:125], s[16:17], v[100:101]
	v_add_f64_e64 v[100:101], v[200:201], -v[192:193]
	v_add_f64_e32 v[66:67], v[70:71], v[74:75]
	s_delay_alu instid0(VALU_DEP_3)
	v_fma_f64 v[78:79], v[122:123], s[14:15], v[78:79]
	v_add_f64_e64 v[70:71], v[70:71], -v[74:75]
	v_fma_f64 v[74:75], v[110:111], s[18:19], v[108:109]
	v_add_f64_e32 v[110:111], v[204:205], v[180:181]
	v_add_f64_e64 v[108:109], v[196:197], -v[204:205]
	v_fma_f64 v[72:73], v[72:73], s[20:21], v[78:79]
	v_fma_f64 v[78:79], v[122:123], s[18:19], v[98:99]
	;; [unrolled: 1-line block ×3, first 2 shown]
	v_add_f64_e64 v[98:99], v[208:209], -v[184:185]
	v_fma_f64 v[110:111], v[110:111], -0.5, v[212:213]
	v_add_f64_e64 v[112:113], v[188:189], -v[180:181]
	v_add_f64_e32 v[68:69], v[72:73], v[76:77]
	v_add_f64_e64 v[72:73], v[72:73], -v[76:77]
	v_fma_f64 v[76:77], v[118:119], s[16:17], v[94:95]
	v_fma_f64 v[78:79], v[124:125], s[14:15], v[78:79]
	v_fma_f64 v[74:75], v[104:105], s[20:21], v[74:75]
	v_add_f64_e64 v[94:95], v[204:205], -v[180:181]
	v_add_f64_e64 v[104:105], v[206:207], -v[198:199]
	v_fma_f64 v[76:77], v[120:121], s[12:13], v[76:77]
	v_fma_f64 v[2:3], v[2:3], s[20:21], v[78:79]
	v_mul_f64_e32 v[78:79], s[14:15], v[74:75]
	v_mul_f64_e32 v[74:75], s[30:31], v[74:75]
	s_delay_alu instid0(VALU_DEP_4) | instskip(SKIP_2) | instid1(VALU_DEP_2)
	v_fma_f64 v[0:1], v[0:1], s[20:21], v[76:77]
	v_fma_f64 v[76:77], v[102:103], s[20:21], v[80:81]
	v_add_f64_e64 v[102:103], v[214:215], -v[190:191]
	v_fma_f64 v[78:79], v[76:77], s[30:31], v[78:79]
	v_fma_f64 v[80:81], v[76:77], s[12:13], v[74:75]
	s_delay_alu instid0(VALU_DEP_2) | instskip(NEXT) | instid1(VALU_DEP_2)
	v_add_f64_e32 v[74:75], v[0:1], v[78:79]
	v_add_f64_e32 v[76:77], v[2:3], v[80:81]
	v_add_f64_e64 v[78:79], v[0:1], -v[78:79]
	v_add_f64_e64 v[80:81], v[2:3], -v[80:81]
	ds_load_b128 v[82:85], v40 offset:2000
	ds_load_b128 v[0:3], v40 offset:4000
	global_wb scope:SCOPE_SE
	s_wait_dscnt 0x0
	s_barrier_signal -1
	s_barrier_wait -1
	global_inv scope:SCOPE_SE
	ds_store_b128 v172, v[4:7]
	ds_store_b128 v172, v[50:53] offset:1200
	ds_store_b128 v172, v[58:61] offset:2400
	;; [unrolled: 1-line block ×9, first 2 shown]
	v_add_f64_e32 v[4:5], v[206:207], v[198:199]
	v_add_f64_e32 v[6:7], v[84:85], v[208:209]
	;; [unrolled: 1-line block ×5, first 2 shown]
	v_add_f64_e64 v[70:71], v[202:203], -v[210:211]
	v_add_f64_e64 v[62:63], v[200:201], -v[208:209]
	;; [unrolled: 1-line block ×3, first 2 shown]
	v_fma_f64 v[74:75], v[4:5], -0.5, v[82:83]
	v_add_f64_e32 v[4:5], v[214:215], v[190:191]
	v_add_f64_e32 v[6:7], v[6:7], v[200:201]
	;; [unrolled: 1-line block ×4, first 2 shown]
	v_fma_f64 v[72:73], v[72:73], -0.5, v[216:217]
	v_add_f64_e32 v[70:71], v[70:71], v[106:107]
	v_add_f64_e32 v[106:107], v[108:109], v[112:113]
	;; [unrolled: 1-line block ×3, first 2 shown]
	v_fma_f64 v[66:67], v[4:5], -0.5, v[82:83]
	v_add_f64_e32 v[4:5], v[200:201], v[192:193]
	v_add_f64_e32 v[6:7], v[6:7], v[192:193]
	;; [unrolled: 1-line block ×4, first 2 shown]
	s_delay_alu instid0(VALU_DEP_4) | instskip(SKIP_4) | instid1(VALU_DEP_4)
	v_fma_f64 v[76:77], v[4:5], -0.5, v[84:85]
	v_add_f64_e32 v[4:5], v[208:209], v[184:185]
	v_add_f64_e32 v[52:53], v[6:7], v[184:185]
	;; [unrolled: 1-line block ×4, first 2 shown]
	v_fma_f64 v[68:69], v[4:5], -0.5, v[84:85]
	v_add_f64_e32 v[4:5], v[82:83], v[214:215]
	s_delay_alu instid0(VALU_DEP_3) | instskip(SKIP_2) | instid1(VALU_DEP_4)
	v_add_f64_e32 v[6:7], v[52:53], v[10:11]
	v_add_f64_e64 v[10:11], v[52:53], -v[10:11]
	v_add_f64_e64 v[52:53], v[190:191], -v[198:199]
	v_add_f64_e32 v[4:5], v[4:5], v[206:207]
	s_delay_alu instid0(VALU_DEP_1) | instskip(NEXT) | instid1(VALU_DEP_1)
	v_add_f64_e32 v[4:5], v[4:5], v[198:199]
	v_add_f64_e32 v[50:51], v[4:5], v[190:191]
	s_delay_alu instid0(VALU_DEP_1) | instskip(SKIP_2) | instid1(VALU_DEP_1)
	v_add_f64_e32 v[4:5], v[50:51], v[8:9]
	v_add_f64_e64 v[8:9], v[50:51], -v[8:9]
	v_add_f64_e64 v[50:51], v[214:215], -v[206:207]
	v_add_f64_e32 v[78:79], v[50:51], v[52:53]
	v_add_f64_e64 v[50:51], v[208:209], -v[200:201]
	v_add_f64_e64 v[52:53], v[184:185], -v[192:193]
	s_delay_alu instid0(VALU_DEP_1) | instskip(SKIP_2) | instid1(VALU_DEP_1)
	v_add_f64_e32 v[80:81], v[50:51], v[52:53]
	v_add_f64_e64 v[50:51], v[210:211], -v[202:203]
	v_add_f64_e64 v[52:53], v[186:187], -v[194:195]
	v_add_f64_e32 v[82:83], v[50:51], v[52:53]
	v_add_f64_e64 v[50:51], v[204:205], -v[196:197]
	v_add_f64_e64 v[52:53], v[180:181], -v[188:189]
	s_delay_alu instid0(VALU_DEP_1) | instskip(SKIP_1) | instid1(VALU_DEP_1)
	v_add_f64_e32 v[84:85], v[50:51], v[52:53]
	v_add_f64_e32 v[50:51], v[202:203], v[194:195]
	v_fma_f64 v[86:87], v[50:51], -0.5, v[216:217]
	v_add_f64_e32 v[50:51], v[196:197], v[188:189]
	s_delay_alu instid0(VALU_DEP_2) | instskip(NEXT) | instid1(VALU_DEP_2)
	v_fma_f64 v[52:53], v[94:95], s[18:19], v[86:87]
	v_fma_f64 v[88:89], v[50:51], -0.5, v[212:213]
	v_fma_f64 v[86:87], v[94:95], s[16:17], v[86:87]
	s_delay_alu instid0(VALU_DEP_3) | instskip(NEXT) | instid1(VALU_DEP_3)
	v_fma_f64 v[52:53], v[96:97], s[14:15], v[52:53]
	v_fma_f64 v[50:51], v[90:91], s[16:17], v[88:89]
	;; [unrolled: 1-line block ×3, first 2 shown]
	s_delay_alu instid0(VALU_DEP_4) | instskip(NEXT) | instid1(VALU_DEP_4)
	v_fma_f64 v[86:87], v[96:97], s[12:13], v[86:87]
	v_fma_f64 v[52:53], v[82:83], s[20:21], v[52:53]
	s_delay_alu instid0(VALU_DEP_4) | instskip(NEXT) | instid1(VALU_DEP_4)
	v_fma_f64 v[50:51], v[92:93], s[12:13], v[50:51]
	v_fma_f64 v[88:89], v[92:93], s[14:15], v[88:89]
	s_delay_alu instid0(VALU_DEP_2) | instskip(NEXT) | instid1(VALU_DEP_2)
	v_fma_f64 v[50:51], v[84:85], s[20:21], v[50:51]
	v_fma_f64 v[84:85], v[84:85], s[20:21], v[88:89]
	v_add_f64_e64 v[88:89], v[24:25], -v[34:35]
	s_delay_alu instid0(VALU_DEP_3) | instskip(SKIP_1) | instid1(VALU_DEP_2)
	v_mul_f64_e32 v[54:55], s[14:15], v[50:51]
	v_mul_f64_e32 v[50:51], s[26:27], v[50:51]
	v_fma_f64 v[54:55], v[52:53], s[26:27], v[54:55]
	s_delay_alu instid0(VALU_DEP_2) | instskip(SKIP_4) | instid1(VALU_DEP_4)
	v_fma_f64 v[56:57], v[52:53], s[12:13], v[50:51]
	v_fma_f64 v[50:51], v[98:99], s[18:19], v[74:75]
	;; [unrolled: 1-line block ×6, first 2 shown]
	s_delay_alu instid0(VALU_DEP_4) | instskip(NEXT) | instid1(VALU_DEP_4)
	v_fma_f64 v[52:53], v[104:105], s[12:13], v[52:53]
	v_fma_f64 v[74:75], v[100:101], s[12:13], v[74:75]
	s_delay_alu instid0(VALU_DEP_4) | instskip(NEXT) | instid1(VALU_DEP_4)
	v_fma_f64 v[76:77], v[104:105], s[14:15], v[76:77]
	v_fma_f64 v[58:59], v[78:79], s[20:21], v[50:51]
	;; [unrolled: 3-line block ×3, first 2 shown]
	s_delay_alu instid0(VALU_DEP_4)
	v_fma_f64 v[80:81], v[80:81], s[20:21], v[76:77]
	v_fma_f64 v[74:75], v[82:83], s[20:21], v[86:87]
	v_mul_f64_e32 v[76:77], s[14:15], v[84:85]
	v_mul_f64_e32 v[82:83], s[30:31], v[84:85]
	v_add_f64_e64 v[86:87], v[18:19], -v[42:43]
	v_add_f64_e32 v[50:51], v[58:59], v[54:55]
	v_add_f64_e32 v[52:53], v[60:61], v[56:57]
	v_add_f64_e64 v[54:55], v[58:59], -v[54:55]
	v_add_f64_e64 v[56:57], v[60:61], -v[56:57]
	;; [unrolled: 1-line block ×4, first 2 shown]
	v_fma_f64 v[84:85], v[74:75], s[30:31], v[76:77]
	v_fma_f64 v[82:83], v[74:75], s[12:13], v[82:83]
	s_delay_alu instid0(VALU_DEP_3)
	v_add_f64_e32 v[114:115], v[58:59], v[60:61]
	v_fma_f64 v[58:59], v[92:93], s[18:19], v[110:111]
	v_fma_f64 v[60:61], v[96:97], s[16:17], v[72:73]
	v_add_f64_e32 v[74:75], v[78:79], v[84:85]
	v_add_f64_e32 v[76:77], v[80:81], v[82:83]
	v_add_f64_e64 v[78:79], v[78:79], -v[84:85]
	v_add_f64_e64 v[80:81], v[80:81], -v[82:83]
	;; [unrolled: 1-line block ×4, first 2 shown]
	v_fma_f64 v[58:59], v[90:91], s[12:13], v[58:59]
	v_fma_f64 v[60:61], v[94:95], s[14:15], v[60:61]
	s_delay_alu instid0(VALU_DEP_2) | instskip(NEXT) | instid1(VALU_DEP_2)
	v_fma_f64 v[58:59], v[106:107], s[20:21], v[58:59]
	v_fma_f64 v[60:61], v[70:71], s[20:21], v[60:61]
	s_delay_alu instid0(VALU_DEP_2) | instskip(SKIP_1) | instid1(VALU_DEP_2)
	v_mul_f64_e32 v[62:63], s[18:19], v[58:59]
	v_mul_f64_e32 v[58:59], s[20:21], v[58:59]
	v_fma_f64 v[62:63], v[60:61], s[20:21], v[62:63]
	s_delay_alu instid0(VALU_DEP_2) | instskip(SKIP_3) | instid1(VALU_DEP_3)
	v_fma_f64 v[64:65], v[60:61], s[16:17], v[58:59]
	v_fma_f64 v[58:59], v[100:101], s[16:17], v[66:67]
	;; [unrolled: 1-line block ×5, first 2 shown]
	s_delay_alu instid0(VALU_DEP_3) | instskip(NEXT) | instid1(VALU_DEP_3)
	v_fma_f64 v[66:67], v[98:99], s[12:13], v[66:67]
	v_fma_f64 v[60:61], v[102:103], s[12:13], v[60:61]
	s_delay_alu instid0(VALU_DEP_3) | instskip(NEXT) | instid1(VALU_DEP_2)
	v_fma_f64 v[108:109], v[114:115], s[20:21], v[58:59]
	v_fma_f64 v[112:113], v[116:117], s[20:21], v[60:61]
	s_delay_alu instid0(VALU_DEP_2)
	v_add_f64_e32 v[58:59], v[108:109], v[62:63]
	v_add_f64_e64 v[62:63], v[108:109], -v[62:63]
	v_fma_f64 v[108:109], v[114:115], s[20:21], v[66:67]
	v_fma_f64 v[66:67], v[104:105], s[16:17], v[68:69]
	v_add_f64_e32 v[60:61], v[112:113], v[64:65]
	v_add_f64_e64 v[64:65], v[112:113], -v[64:65]
	v_fma_f64 v[68:69], v[96:97], s[18:19], v[72:73]
	s_delay_alu instid0(VALU_DEP_4) | instskip(NEXT) | instid1(VALU_DEP_2)
	v_fma_f64 v[66:67], v[102:103], s[14:15], v[66:67]
	v_fma_f64 v[68:69], v[94:95], s[12:13], v[68:69]
	s_delay_alu instid0(VALU_DEP_2) | instskip(SKIP_1) | instid1(VALU_DEP_3)
	v_fma_f64 v[112:113], v[116:117], s[20:21], v[66:67]
	v_fma_f64 v[66:67], v[92:93], s[16:17], v[110:111]
	;; [unrolled: 1-line block ×3, first 2 shown]
	s_delay_alu instid0(VALU_DEP_2) | instskip(NEXT) | instid1(VALU_DEP_1)
	v_fma_f64 v[66:67], v[90:91], s[14:15], v[66:67]
	v_fma_f64 v[66:67], v[106:107], s[20:21], v[66:67]
	s_delay_alu instid0(VALU_DEP_1) | instskip(SKIP_1) | instid1(VALU_DEP_2)
	v_mul_f64_e32 v[70:71], s[18:19], v[66:67]
	v_mul_f64_e32 v[66:67], s[28:29], v[66:67]
	v_fma_f64 v[70:71], v[68:69], s[28:29], v[70:71]
	s_delay_alu instid0(VALU_DEP_2) | instskip(NEXT) | instid1(VALU_DEP_2)
	v_fma_f64 v[72:73], v[68:69], s[16:17], v[66:67]
	v_add_f64_e32 v[66:67], v[108:109], v[70:71]
	s_delay_alu instid0(VALU_DEP_2)
	v_add_f64_e32 v[68:69], v[112:113], v[72:73]
	v_add_f64_e64 v[70:71], v[108:109], -v[70:71]
	v_add_f64_e64 v[72:73], v[112:113], -v[72:73]
	ds_store_b128 v175, v[4:7]
	ds_store_b128 v175, v[50:53] offset:1200
	ds_store_b128 v175, v[58:61] offset:2400
	;; [unrolled: 1-line block ×9, first 2 shown]
	v_add_f64_e32 v[4:5], v[24:25], v[34:35]
	v_add_f64_e32 v[6:7], v[14:15], v[16:17]
	v_add_f64_e64 v[78:79], v[16:17], -v[48:49]
	v_add_f64_e64 v[80:81], v[28:29], -v[32:33]
	;; [unrolled: 1-line block ×4, first 2 shown]
	v_fma_f64 v[54:55], v[4:5], -0.5, v[0:1]
	v_add_f64_e32 v[4:5], v[18:19], v[42:43]
	v_add_f64_e32 v[6:7], v[6:7], v[28:29]
	s_delay_alu instid0(VALU_DEP_2) | instskip(SKIP_2) | instid1(VALU_DEP_4)
	v_fma_f64 v[56:57], v[4:5], -0.5, v[0:1]
	v_add_f64_e32 v[4:5], v[26:27], v[36:37]
	v_add_f64_e32 v[0:1], v[0:1], v[18:19]
	;; [unrolled: 1-line block ×3, first 2 shown]
	s_delay_alu instid0(VALU_DEP_3) | instskip(SKIP_1) | instid1(VALU_DEP_4)
	v_fma_f64 v[58:59], v[4:5], -0.5, v[2:3]
	v_add_f64_e32 v[4:5], v[20:21], v[44:45]
	v_add_f64_e32 v[0:1], v[0:1], v[24:25]
	s_delay_alu instid0(VALU_DEP_4) | instskip(NEXT) | instid1(VALU_DEP_3)
	v_add_f64_e32 v[6:7], v[6:7], v[48:49]
	v_fma_f64 v[60:61], v[4:5], -0.5, v[2:3]
	v_add_f64_e32 v[2:3], v[2:3], v[20:21]
	v_add_f64_e32 v[4:5], v[12:13], v[22:23]
	;; [unrolled: 1-line block ×3, first 2 shown]
	s_delay_alu instid0(VALU_DEP_3) | instskip(NEXT) | instid1(VALU_DEP_3)
	v_add_f64_e32 v[2:3], v[2:3], v[26:27]
	v_add_f64_e32 v[4:5], v[4:5], v[30:31]
	s_delay_alu instid0(VALU_DEP_3) | instskip(NEXT) | instid1(VALU_DEP_3)
	v_add_f64_e32 v[8:9], v[0:1], v[42:43]
	v_add_f64_e32 v[2:3], v[2:3], v[36:37]
	s_delay_alu instid0(VALU_DEP_3) | instskip(NEXT) | instid1(VALU_DEP_2)
	v_add_f64_e32 v[4:5], v[4:5], v[38:39]
	v_add_f64_e32 v[10:11], v[2:3], v[44:45]
	s_delay_alu instid0(VALU_DEP_2) | instskip(NEXT) | instid1(VALU_DEP_2)
	v_add_f64_e32 v[4:5], v[4:5], v[46:47]
	v_add_f64_e32 v[2:3], v[10:11], v[6:7]
	s_delay_alu instid0(VALU_DEP_2)
	v_add_f64_e32 v[0:1], v[8:9], v[4:5]
	v_add_f64_e64 v[4:5], v[8:9], -v[4:5]
	v_add_f64_e64 v[6:7], v[10:11], -v[6:7]
	;; [unrolled: 1-line block ×7, first 2 shown]
	s_delay_alu instid0(VALU_DEP_4)
	v_add_f64_e32 v[62:63], v[8:9], v[10:11]
	v_add_f64_e64 v[8:9], v[20:21], -v[26:27]
	v_add_f64_e64 v[10:11], v[44:45], -v[36:37]
	;; [unrolled: 1-line block ×4, first 2 shown]
	v_add_f64_e32 v[24:25], v[18:19], v[24:25]
	s_delay_alu instid0(VALU_DEP_4) | instskip(SKIP_3) | instid1(VALU_DEP_2)
	v_add_f64_e32 v[64:65], v[8:9], v[10:11]
	v_add_f64_e64 v[8:9], v[22:23], -v[30:31]
	v_add_f64_e64 v[10:11], v[46:47], -v[38:39]
	v_add_f64_e32 v[20:21], v[20:21], v[26:27]
	v_add_f64_e32 v[66:67], v[8:9], v[10:11]
	v_add_f64_e64 v[8:9], v[16:17], -v[28:29]
	v_add_f64_e64 v[10:11], v[48:49], -v[32:33]
	s_delay_alu instid0(VALU_DEP_1) | instskip(SKIP_3) | instid1(VALU_DEP_3)
	v_add_f64_e32 v[68:69], v[8:9], v[10:11]
	v_add_f64_e32 v[8:9], v[30:31], v[38:39]
	v_add_f64_e64 v[30:31], v[30:31], -v[22:23]
	v_add_f64_e32 v[22:23], v[22:23], v[46:47]
	v_fma_f64 v[70:71], v[8:9], -0.5, v[12:13]
	v_add_f64_e32 v[8:9], v[28:29], v[32:33]
	v_add_f64_e64 v[28:29], v[28:29], -v[16:17]
	v_add_f64_e32 v[16:17], v[16:17], v[48:49]
	v_add_f64_e64 v[32:33], v[32:33], -v[48:49]
	v_fma_f64 v[22:23], v[22:23], -0.5, v[12:13]
	v_add_f64_e32 v[26:27], v[30:31], v[34:35]
	v_fma_f64 v[10:11], v[78:79], s[18:19], v[70:71]
	v_fma_f64 v[72:73], v[8:9], -0.5, v[14:15]
	v_fma_f64 v[34:35], v[78:79], s[16:17], v[70:71]
	v_fma_f64 v[36:37], v[16:17], -0.5, v[14:15]
	v_add_f64_e32 v[28:29], v[28:29], v[32:33]
	v_fma_f64 v[14:15], v[80:81], s[16:17], v[22:23]
	v_fma_f64 v[22:23], v[80:81], s[18:19], v[22:23]
	;; [unrolled: 1-line block ×13, first 2 shown]
	s_delay_alu instid0(VALU_DEP_4) | instskip(NEXT) | instid1(VALU_DEP_4)
	v_fma_f64 v[8:9], v[68:69], s[20:21], v[8:9]
	v_fma_f64 v[12:13], v[28:29], s[20:21], v[12:13]
	s_delay_alu instid0(VALU_DEP_2) | instskip(SKIP_1) | instid1(VALU_DEP_3)
	v_mul_f64_e32 v[50:51], s[14:15], v[8:9]
	v_mul_f64_e32 v[8:9], s[26:27], v[8:9]
	;; [unrolled: 1-line block ×4, first 2 shown]
	s_delay_alu instid0(VALU_DEP_4) | instskip(NEXT) | instid1(VALU_DEP_4)
	v_fma_f64 v[50:51], v[10:11], s[26:27], v[50:51]
	v_fma_f64 v[52:53], v[10:11], s[12:13], v[8:9]
	s_delay_alu instid0(VALU_DEP_4) | instskip(NEXT) | instid1(VALU_DEP_4)
	v_fma_f64 v[16:17], v[14:15], s[20:21], v[16:17]
	v_fma_f64 v[18:19], v[14:15], s[16:17], v[12:13]
	;; [unrolled: 1-line block ×6, first 2 shown]
	s_delay_alu instid0(VALU_DEP_4) | instskip(NEXT) | instid1(VALU_DEP_4)
	v_fma_f64 v[12:13], v[82:83], s[14:15], v[12:13]
	v_fma_f64 v[14:15], v[86:87], s[12:13], v[14:15]
	s_delay_alu instid0(VALU_DEP_4) | instskip(NEXT) | instid1(VALU_DEP_4)
	v_fma_f64 v[8:9], v[84:85], s[14:15], v[8:9]
	v_fma_f64 v[10:11], v[88:89], s[12:13], v[10:11]
	;; [unrolled: 3-line block ×4, first 2 shown]
	s_delay_alu instid0(VALU_DEP_4)
	v_add_f64_e32 v[12:13], v[30:31], v[16:17]
	v_add_f64_e64 v[16:17], v[30:31], -v[16:17]
	v_fma_f64 v[30:31], v[84:85], s[18:19], v[56:57]
	v_add_f64_e32 v[14:15], v[32:33], v[18:19]
	v_add_f64_e64 v[18:19], v[32:33], -v[18:19]
	v_fma_f64 v[32:33], v[86:87], s[18:19], v[58:59]
	v_add_f64_e32 v[8:9], v[90:91], v[50:51]
	v_add_f64_e32 v[10:11], v[92:93], v[52:53]
	v_add_f64_e64 v[50:51], v[90:91], -v[50:51]
	v_add_f64_e64 v[52:53], v[92:93], -v[52:53]
	v_fma_f64 v[30:31], v[82:83], s[12:13], v[30:31]
	v_fma_f64 v[32:33], v[88:89], s[14:15], v[32:33]
	s_delay_alu instid0(VALU_DEP_2) | instskip(SKIP_1) | instid1(VALU_DEP_3)
	v_fma_f64 v[24:25], v[24:25], s[20:21], v[30:31]
	v_fma_f64 v[30:31], v[88:89], s[16:17], v[60:61]
	;; [unrolled: 1-line block ×3, first 2 shown]
	s_delay_alu instid0(VALU_DEP_2) | instskip(NEXT) | instid1(VALU_DEP_1)
	v_fma_f64 v[30:31], v[86:87], s[14:15], v[30:31]
	v_fma_f64 v[30:31], v[20:21], s[20:21], v[30:31]
	;; [unrolled: 1-line block ×3, first 2 shown]
	s_delay_alu instid0(VALU_DEP_1) | instskip(NEXT) | instid1(VALU_DEP_1)
	v_fma_f64 v[20:21], v[74:75], s[14:15], v[20:21]
	v_fma_f64 v[20:21], v[28:29], s[20:21], v[20:21]
	s_delay_alu instid0(VALU_DEP_1) | instskip(SKIP_1) | instid1(VALU_DEP_2)
	v_mul_f64_e32 v[26:27], s[18:19], v[20:21]
	v_mul_f64_e32 v[20:21], s[28:29], v[20:21]
	v_fma_f64 v[26:27], v[22:23], s[28:29], v[26:27]
	s_delay_alu instid0(VALU_DEP_2) | instskip(NEXT) | instid1(VALU_DEP_2)
	v_fma_f64 v[28:29], v[22:23], s[16:17], v[20:21]
	v_add_f64_e32 v[20:21], v[24:25], v[26:27]
	s_delay_alu instid0(VALU_DEP_2) | instskip(SKIP_4) | instid1(VALU_DEP_2)
	v_add_f64_e32 v[22:23], v[30:31], v[28:29]
	v_add_f64_e64 v[24:25], v[24:25], -v[26:27]
	v_add_f64_e64 v[26:27], v[30:31], -v[28:29]
	v_fma_f64 v[28:29], v[74:75], s[18:19], v[72:73]
	v_fma_f64 v[30:31], v[82:83], s[16:17], v[54:55]
	v_fma_f64 v[28:29], v[76:77], s[14:15], v[28:29]
	s_delay_alu instid0(VALU_DEP_2) | instskip(NEXT) | instid1(VALU_DEP_2)
	v_fma_f64 v[30:31], v[84:85], s[12:13], v[30:31]
	v_fma_f64 v[28:29], v[68:69], s[20:21], v[28:29]
	s_delay_alu instid0(VALU_DEP_2) | instskip(SKIP_1) | instid1(VALU_DEP_3)
	v_fma_f64 v[36:37], v[62:63], s[20:21], v[30:31]
	v_fma_f64 v[30:31], v[66:67], s[20:21], v[34:35]
	v_mul_f64_e32 v[32:33], s[14:15], v[28:29]
	v_mul_f64_e32 v[28:29], s[30:31], v[28:29]
	s_delay_alu instid0(VALU_DEP_2) | instskip(NEXT) | instid1(VALU_DEP_2)
	v_fma_f64 v[32:33], v[30:31], s[30:31], v[32:33]
	v_fma_f64 v[34:35], v[30:31], s[12:13], v[28:29]
	s_delay_alu instid0(VALU_DEP_2) | instskip(NEXT) | instid1(VALU_DEP_2)
	v_add_f64_e32 v[28:29], v[36:37], v[32:33]
	v_add_f64_e32 v[30:31], v[38:39], v[34:35]
	v_add_f64_e64 v[32:33], v[36:37], -v[32:33]
	v_add_f64_e64 v[34:35], v[38:39], -v[34:35]
	ds_store_b128 v41, v[0:3]
	ds_store_b128 v41, v[8:11] offset:1200
	ds_store_b128 v41, v[12:15] offset:2400
	;; [unrolled: 1-line block ×9, first 2 shown]
	global_wb scope:SCOPE_SE
	s_wait_dscnt 0x0
	s_barrier_signal -1
	s_barrier_wait -1
	global_inv scope:SCOPE_SE
	scratch_load_b128 v[6:9], off, off offset:1684 th:TH_LOAD_LU ; 16-byte Folded Reload
	ds_load_b128 v[0:3], v40 offset:12000
	s_wait_loadcnt_dscnt 0x0
	v_mul_f64_e32 v[4:5], v[8:9], v[2:3]
	s_delay_alu instid0(VALU_DEP_1) | instskip(SKIP_1) | instid1(VALU_DEP_1)
	v_fma_f64 v[12:13], v[6:7], v[0:1], v[4:5]
	v_mul_f64_e32 v[0:1], v[8:9], v[0:1]
	v_fma_f64 v[14:15], v[6:7], v[2:3], -v[0:1]
	scratch_load_b128 v[6:9], off, off offset:1668 th:TH_LOAD_LU ; 16-byte Folded Reload
	ds_load_b128 v[0:3], v40 offset:24000
	s_wait_loadcnt_dscnt 0x0
	v_mul_f64_e32 v[4:5], v[8:9], v[2:3]
	s_delay_alu instid0(VALU_DEP_1) | instskip(SKIP_1) | instid1(VALU_DEP_1)
	v_fma_f64 v[16:17], v[6:7], v[0:1], v[4:5]
	v_mul_f64_e32 v[0:1], v[8:9], v[0:1]
	v_fma_f64 v[18:19], v[6:7], v[2:3], -v[0:1]
	scratch_load_b128 v[6:9], off, off offset:1652 th:TH_LOAD_LU ; 16-byte Folded Reload
	ds_load_b128 v[0:3], v40 offset:36000
	s_wait_loadcnt_dscnt 0x0
	v_mul_f64_e32 v[4:5], v[8:9], v[2:3]
	s_delay_alu instid0(VALU_DEP_1) | instskip(SKIP_1) | instid1(VALU_DEP_2)
	v_fma_f64 v[20:21], v[6:7], v[0:1], v[4:5]
	v_mul_f64_e32 v[0:1], v[8:9], v[0:1]
	v_add_f64_e64 v[104:105], v[16:17], -v[20:21]
	s_delay_alu instid0(VALU_DEP_2)
	v_fma_f64 v[22:23], v[6:7], v[2:3], -v[0:1]
	scratch_load_b128 v[6:9], off, off offset:1636 th:TH_LOAD_LU ; 16-byte Folded Reload
	ds_load_b128 v[0:3], v40 offset:48000
	v_add_f64_e64 v[94:95], v[18:19], -v[22:23]
	s_wait_loadcnt_dscnt 0x0
	v_mul_f64_e32 v[4:5], v[8:9], v[2:3]
	s_delay_alu instid0(VALU_DEP_1) | instskip(SKIP_1) | instid1(VALU_DEP_2)
	v_fma_f64 v[24:25], v[6:7], v[0:1], v[4:5]
	v_mul_f64_e32 v[0:1], v[8:9], v[0:1]
	v_add_f64_e64 v[98:99], v[12:13], -v[24:25]
	s_delay_alu instid0(VALU_DEP_2)
	v_fma_f64 v[26:27], v[6:7], v[2:3], -v[0:1]
	scratch_load_b128 v[6:9], off, off offset:1748 th:TH_LOAD_LU ; 16-byte Folded Reload
	ds_load_b128 v[0:3], v40 offset:14000
	v_add_f64_e64 v[30:31], v[14:15], -v[26:27]
	s_wait_loadcnt_dscnt 0x0
	v_mul_f64_e32 v[4:5], v[8:9], v[2:3]
	s_delay_alu instid0(VALU_DEP_1) | instskip(SKIP_1) | instid1(VALU_DEP_1)
	v_fma_f64 v[32:33], v[6:7], v[0:1], v[4:5]
	v_mul_f64_e32 v[0:1], v[8:9], v[0:1]
	v_fma_f64 v[34:35], v[6:7], v[2:3], -v[0:1]
	scratch_load_b128 v[6:9], off, off offset:1716 th:TH_LOAD_LU ; 16-byte Folded Reload
	ds_load_b128 v[0:3], v40 offset:26000
	s_wait_loadcnt_dscnt 0x0
	v_mul_f64_e32 v[4:5], v[8:9], v[2:3]
	s_delay_alu instid0(VALU_DEP_1) | instskip(SKIP_1) | instid1(VALU_DEP_1)
	v_fma_f64 v[36:37], v[6:7], v[0:1], v[4:5]
	v_mul_f64_e32 v[0:1], v[8:9], v[0:1]
	v_fma_f64 v[38:39], v[6:7], v[2:3], -v[0:1]
	scratch_load_b128 v[6:9], off, off offset:1700 th:TH_LOAD_LU ; 16-byte Folded Reload
	ds_load_b128 v[0:3], v40 offset:38000
	s_wait_loadcnt_dscnt 0x0
	v_mul_f64_e32 v[4:5], v[8:9], v[2:3]
	s_delay_alu instid0(VALU_DEP_1) | instskip(SKIP_1) | instid1(VALU_DEP_2)
	v_fma_f64 v[41:42], v[6:7], v[0:1], v[4:5]
	v_mul_f64_e32 v[0:1], v[8:9], v[0:1]
	v_add_f64_e64 v[120:121], v[36:37], -v[41:42]
	s_delay_alu instid0(VALU_DEP_2) | instskip(SKIP_4) | instid1(VALU_DEP_1)
	v_fma_f64 v[43:44], v[6:7], v[2:3], -v[0:1]
	scratch_load_b128 v[6:9], off, off offset:1732 th:TH_LOAD_LU ; 16-byte Folded Reload
	ds_load_b128 v[0:3], v40 offset:50000
	s_wait_loadcnt_dscnt 0x0
	v_mul_f64_e32 v[4:5], v[8:9], v[2:3]
	v_fma_f64 v[45:46], v[6:7], v[0:1], v[4:5]
	v_mul_f64_e32 v[0:1], v[8:9], v[0:1]
	s_delay_alu instid0(VALU_DEP_1) | instskip(SKIP_4) | instid1(VALU_DEP_1)
	v_fma_f64 v[92:93], v[6:7], v[2:3], -v[0:1]
	scratch_load_b128 v[6:9], off, off offset:1796 th:TH_LOAD_LU ; 16-byte Folded Reload
	ds_load_b128 v[0:3], v40 offset:16000
	s_wait_loadcnt_dscnt 0x0
	v_mul_f64_e32 v[4:5], v[8:9], v[2:3]
	v_fma_f64 v[50:51], v[6:7], v[0:1], v[4:5]
	v_mul_f64_e32 v[0:1], v[8:9], v[0:1]
	s_delay_alu instid0(VALU_DEP_1) | instskip(SKIP_4) | instid1(VALU_DEP_1)
	v_fma_f64 v[48:49], v[6:7], v[2:3], -v[0:1]
	scratch_load_b128 v[6:9], off, off offset:1812 th:TH_LOAD_LU ; 16-byte Folded Reload
	ds_load_b128 v[0:3], v40 offset:28000
	s_wait_dscnt 0x0
	v_mul_f64_e32 v[4:5], v[252:253], v[2:3]
	v_fma_f64 v[52:53], v[250:251], v[0:1], v[4:5]
	v_mul_f64_e32 v[0:1], v[252:253], v[0:1]
	s_delay_alu instid0(VALU_DEP_1) | instskip(SKIP_3) | instid1(VALU_DEP_1)
	v_fma_f64 v[54:55], v[250:251], v[2:3], -v[0:1]
	ds_load_b128 v[0:3], v40 offset:40000
	s_wait_loadcnt_dscnt 0x0
	v_mul_f64_e32 v[4:5], v[8:9], v[2:3]
	v_fma_f64 v[58:59], v[6:7], v[0:1], v[4:5]
	v_mul_f64_e32 v[0:1], v[8:9], v[0:1]
	s_delay_alu instid0(VALU_DEP_2) | instskip(NEXT) | instid1(VALU_DEP_2)
	v_add_f64_e64 v[124:125], v[52:53], -v[58:59]
	v_fma_f64 v[56:57], v[6:7], v[2:3], -v[0:1]
	scratch_load_b128 v[6:9], off, off offset:1780 th:TH_LOAD_LU ; 16-byte Folded Reload
	ds_load_b128 v[0:3], v40 offset:52000
	s_wait_loadcnt_dscnt 0x0
	v_mul_f64_e32 v[4:5], v[8:9], v[2:3]
	s_delay_alu instid0(VALU_DEP_1) | instskip(SKIP_1) | instid1(VALU_DEP_1)
	v_fma_f64 v[148:149], v[6:7], v[0:1], v[4:5]
	v_mul_f64_e32 v[0:1], v[8:9], v[0:1]
	v_fma_f64 v[144:145], v[6:7], v[2:3], -v[0:1]
	ds_load_b128 v[0:3], v40 offset:18000
	scratch_load_b128 v[6:9], off, off offset:1764 th:TH_LOAD_LU ; 16-byte Folded Reload
	s_wait_dscnt 0x0
	v_mul_f64_e32 v[4:5], v[248:249], v[2:3]
	s_delay_alu instid0(VALU_DEP_1) | instskip(SKIP_1) | instid1(VALU_DEP_1)
	v_fma_f64 v[102:103], v[246:247], v[0:1], v[4:5]
	v_mul_f64_e32 v[0:1], v[248:249], v[0:1]
	v_fma_f64 v[100:101], v[246:247], v[2:3], -v[0:1]
	ds_load_b128 v[0:3], v40 offset:30000
	s_wait_dscnt 0x0
	v_mul_f64_e32 v[4:5], v[244:245], v[2:3]
	s_delay_alu instid0(VALU_DEP_1) | instskip(SKIP_1) | instid1(VALU_DEP_1)
	v_fma_f64 v[112:113], v[242:243], v[0:1], v[4:5]
	v_mul_f64_e32 v[0:1], v[244:245], v[0:1]
	v_fma_f64 v[108:109], v[242:243], v[2:3], -v[0:1]
	ds_load_b128 v[0:3], v40 offset:42000
	s_wait_dscnt 0x0
	v_mul_f64_e32 v[4:5], v[240:241], v[2:3]
	s_delay_alu instid0(VALU_DEP_1) | instskip(SKIP_1) | instid1(VALU_DEP_2)
	v_fma_f64 v[114:115], v[238:239], v[0:1], v[4:5]
	v_mul_f64_e32 v[0:1], v[240:241], v[0:1]
	v_add_f64_e64 v[132:133], v[112:113], -v[114:115]
	s_delay_alu instid0(VALU_DEP_2) | instskip(SKIP_4) | instid1(VALU_DEP_2)
	v_fma_f64 v[110:111], v[238:239], v[2:3], -v[0:1]
	ds_load_b128 v[0:3], v40 offset:54000
	s_wait_dscnt 0x0
	v_mul_f64_e32 v[4:5], v[236:237], v[2:3]
	v_add_f64_e64 v[128:129], v[108:109], -v[110:111]
	v_fma_f64 v[118:119], v[234:235], v[0:1], v[4:5]
	v_mul_f64_e32 v[0:1], v[236:237], v[0:1]
	s_delay_alu instid0(VALU_DEP_2) | instskip(NEXT) | instid1(VALU_DEP_2)
	v_add_f64_e64 v[130:131], v[102:103], -v[118:119]
	v_fma_f64 v[116:117], v[234:235], v[2:3], -v[0:1]
	ds_load_b128 v[0:3], v40 offset:20000
	s_wait_dscnt 0x0
	v_mul_f64_e32 v[4:5], v[228:229], v[2:3]
	s_delay_alu instid0(VALU_DEP_1) | instskip(SKIP_1) | instid1(VALU_DEP_1)
	v_fma_f64 v[78:79], v[226:227], v[0:1], v[4:5]
	v_mul_f64_e32 v[0:1], v[228:229], v[0:1]
	v_fma_f64 v[76:77], v[226:227], v[2:3], -v[0:1]
	ds_load_b128 v[0:3], v40 offset:32000
	s_wait_dscnt 0x0
	v_mul_f64_e32 v[4:5], v[162:163], v[2:3]
	s_delay_alu instid0(VALU_DEP_1) | instskip(SKIP_1) | instid1(VALU_DEP_1)
	v_fma_f64 v[82:83], v[160:161], v[0:1], v[4:5]
	v_mul_f64_e32 v[0:1], v[162:163], v[0:1]
	v_fma_f64 v[80:81], v[160:161], v[2:3], -v[0:1]
	ds_load_b128 v[0:3], v40 offset:44000
	s_wait_dscnt 0x0
	v_mul_f64_e32 v[4:5], v[166:167], v[2:3]
	s_delay_alu instid0(VALU_DEP_1) | instskip(SKIP_1) | instid1(VALU_DEP_2)
	v_fma_f64 v[86:87], v[164:165], v[0:1], v[4:5]
	v_mul_f64_e32 v[0:1], v[166:167], v[0:1]
	v_add_f64_e64 v[136:137], v[82:83], -v[86:87]
	s_delay_alu instid0(VALU_DEP_2) | instskip(SKIP_3) | instid1(VALU_DEP_1)
	v_fma_f64 v[84:85], v[164:165], v[2:3], -v[0:1]
	ds_load_b128 v[0:3], v40 offset:56000
	s_wait_dscnt 0x0
	v_mul_f64_e32 v[4:5], v[232:233], v[2:3]
	v_fma_f64 v[90:91], v[230:231], v[0:1], v[4:5]
	v_mul_f64_e32 v[0:1], v[232:233], v[0:1]
	s_delay_alu instid0(VALU_DEP_1) | instskip(SKIP_3) | instid1(VALU_DEP_1)
	v_fma_f64 v[88:89], v[230:231], v[2:3], -v[0:1]
	ds_load_b128 v[0:3], v40 offset:22000
	s_wait_dscnt 0x0
	v_mul_f64_e32 v[4:5], v[224:225], v[2:3]
	v_fma_f64 v[68:69], v[222:223], v[0:1], v[4:5]
	v_mul_f64_e32 v[0:1], v[224:225], v[0:1]
	s_delay_alu instid0(VALU_DEP_1) | instskip(SKIP_3) | instid1(VALU_DEP_1)
	v_fma_f64 v[64:65], v[222:223], v[2:3], -v[0:1]
	ds_load_b128 v[0:3], v40 offset:34000
	s_wait_dscnt 0x0
	v_mul_f64_e32 v[4:5], v[158:159], v[2:3]
	v_fma_f64 v[70:71], v[156:157], v[0:1], v[4:5]
	v_mul_f64_e32 v[0:1], v[158:159], v[0:1]
	s_delay_alu instid0(VALU_DEP_2) | instskip(NEXT) | instid1(VALU_DEP_2)
	v_add_f64_e64 v[142:143], v[68:69], -v[70:71]
	v_fma_f64 v[66:67], v[156:157], v[2:3], -v[0:1]
	ds_load_b128 v[0:3], v40 offset:46000
	s_wait_dscnt 0x0
	v_mul_f64_e32 v[4:5], v[220:221], v[2:3]
	s_delay_alu instid0(VALU_DEP_1) | instskip(SKIP_1) | instid1(VALU_DEP_1)
	v_fma_f64 v[72:73], v[218:219], v[0:1], v[4:5]
	v_mul_f64_e32 v[0:1], v[220:221], v[0:1]
	v_fma_f64 v[60:61], v[218:219], v[2:3], -v[0:1]
	ds_load_b128 v[0:3], v40 offset:58000
	s_wait_loadcnt_dscnt 0x0
	v_mul_f64_e32 v[4:5], v[8:9], v[2:3]
	s_delay_alu instid0(VALU_DEP_1)
	v_fma_f64 v[74:75], v[6:7], v[0:1], v[4:5]
	v_mul_f64_e32 v[0:1], v[8:9], v[0:1]
	v_add_f64_e64 v[4:5], v[26:27], -v[22:23]
	ds_load_b128 v[8:11], v40
	v_add_f64_e64 v[140:141], v[68:69], -v[74:75]
	v_fma_f64 v[62:63], v[6:7], v[2:3], -v[0:1]
	v_add_f64_e64 v[0:1], v[12:13], -v[16:17]
	v_add_f64_e64 v[2:3], v[24:25], -v[20:21]
	v_add_f64_e32 v[6:7], v[18:19], v[22:23]
	s_delay_alu instid0(VALU_DEP_2) | instskip(SKIP_2) | instid1(VALU_DEP_3)
	v_add_f64_e32 v[0:1], v[0:1], v[2:3]
	v_add_f64_e64 v[2:3], v[14:15], -v[18:19]
	s_wait_dscnt 0x0
	v_fma_f64 v[96:97], v[6:7], -0.5, v[10:11]
	s_delay_alu instid0(VALU_DEP_2) | instskip(SKIP_1) | instid1(VALU_DEP_3)
	v_add_f64_e32 v[2:3], v[2:3], v[4:5]
	v_add_f64_e32 v[4:5], v[16:17], v[20:21]
	v_fma_f64 v[6:7], v[98:99], s[16:17], v[96:97]
	v_fma_f64 v[96:97], v[98:99], s[18:19], v[96:97]
	s_delay_alu instid0(VALU_DEP_3) | instskip(NEXT) | instid1(VALU_DEP_3)
	v_fma_f64 v[28:29], v[4:5], -0.5, v[8:9]
	v_fma_f64 v[6:7], v[104:105], s[12:13], v[6:7]
	s_delay_alu instid0(VALU_DEP_3) | instskip(NEXT) | instid1(VALU_DEP_3)
	v_fma_f64 v[96:97], v[104:105], s[14:15], v[96:97]
	v_fma_f64 v[4:5], v[30:31], s[18:19], v[28:29]
	;; [unrolled: 1-line block ×3, first 2 shown]
	s_delay_alu instid0(VALU_DEP_4) | instskip(NEXT) | instid1(VALU_DEP_4)
	v_fma_f64 v[6:7], v[2:3], s[20:21], v[6:7]
	v_fma_f64 v[2:3], v[2:3], s[20:21], v[96:97]
	v_add_f64_e32 v[96:97], v[14:15], v[26:27]
	v_fma_f64 v[4:5], v[94:95], s[14:15], v[4:5]
	v_fma_f64 v[28:29], v[94:95], s[12:13], v[28:29]
	s_delay_alu instid0(VALU_DEP_3) | instskip(SKIP_1) | instid1(VALU_DEP_4)
	v_fma_f64 v[96:97], v[96:97], -0.5, v[10:11]
	v_add_f64_e32 v[10:11], v[10:11], v[14:15]
	v_fma_f64 v[4:5], v[0:1], s[20:21], v[4:5]
	s_delay_alu instid0(VALU_DEP_4) | instskip(SKIP_1) | instid1(VALU_DEP_4)
	v_fma_f64 v[0:1], v[0:1], s[20:21], v[28:29]
	v_add_f64_e32 v[28:29], v[12:13], v[24:25]
	v_add_f64_e32 v[10:11], v[10:11], v[18:19]
	v_add_f64_e64 v[18:19], v[18:19], -v[14:15]
	s_delay_alu instid0(VALU_DEP_3) | instskip(SKIP_1) | instid1(VALU_DEP_4)
	v_fma_f64 v[28:29], v[28:29], -0.5, v[8:9]
	v_add_f64_e32 v[8:9], v[8:9], v[12:13]
	v_add_f64_e32 v[10:11], v[10:11], v[22:23]
	s_delay_alu instid0(VALU_DEP_3) | instskip(NEXT) | instid1(VALU_DEP_3)
	v_fma_f64 v[106:107], v[94:95], s[16:17], v[28:29]
	v_add_f64_e32 v[8:9], v[8:9], v[16:17]
	v_add_f64_e64 v[16:17], v[16:17], -v[12:13]
	v_fma_f64 v[28:29], v[94:95], s[18:19], v[28:29]
	v_add_f64_e32 v[14:15], v[10:11], v[26:27]
	v_fma_f64 v[10:11], v[104:105], s[18:19], v[96:97]
	v_add_f64_e32 v[8:9], v[8:9], v[20:21]
	v_add_f64_e64 v[20:21], v[20:21], -v[24:25]
	s_delay_alu instid0(VALU_DEP_2) | instskip(SKIP_2) | instid1(VALU_DEP_4)
	v_add_f64_e32 v[12:13], v[8:9], v[24:25]
	v_add_f64_e64 v[8:9], v[22:23], -v[26:27]
	v_fma_f64 v[22:23], v[104:105], s[16:17], v[96:97]
	v_add_f64_e32 v[20:21], v[16:17], v[20:21]
	v_fma_f64 v[16:17], v[30:31], s[14:15], v[106:107]
	v_fma_f64 v[24:25], v[30:31], s[12:13], v[28:29]
	ds_load_b128 v[28:31], v40 offset:2000
	v_add_f64_e64 v[104:105], v[38:39], -v[43:44]
	v_add_f64_e64 v[106:107], v[32:33], -v[45:46]
	v_add_f64_e32 v[26:27], v[18:19], v[8:9]
	v_fma_f64 v[8:9], v[98:99], s[12:13], v[10:11]
	v_fma_f64 v[10:11], v[98:99], s[14:15], v[22:23]
	;; [unrolled: 1-line block ×3, first 2 shown]
	v_add_f64_e64 v[22:23], v[45:46], -v[41:42]
	v_add_f64_e64 v[98:99], v[34:35], -v[92:93]
	v_fma_f64 v[18:19], v[26:27], s[20:21], v[8:9]
	v_fma_f64 v[8:9], v[20:21], s[20:21], v[24:25]
	v_add_f64_e64 v[20:21], v[32:33], -v[36:37]
	v_add_f64_e64 v[24:25], v[92:93], -v[43:44]
	v_fma_f64 v[10:11], v[26:27], s[20:21], v[10:11]
	s_delay_alu instid0(VALU_DEP_3) | instskip(SKIP_1) | instid1(VALU_DEP_1)
	v_add_f64_e32 v[20:21], v[20:21], v[22:23]
	v_add_f64_e64 v[22:23], v[34:35], -v[38:39]
	v_add_f64_e32 v[22:23], v[22:23], v[24:25]
	v_add_f64_e32 v[24:25], v[36:37], v[41:42]
	s_wait_dscnt 0x0
	s_delay_alu instid0(VALU_DEP_1) | instskip(SKIP_1) | instid1(VALU_DEP_1)
	v_fma_f64 v[94:95], v[24:25], -0.5, v[28:29]
	v_add_f64_e32 v[24:25], v[38:39], v[43:44]
	v_fma_f64 v[96:97], v[24:25], -0.5, v[30:31]
	s_delay_alu instid0(VALU_DEP_3) | instskip(SKIP_1) | instid1(VALU_DEP_3)
	v_fma_f64 v[24:25], v[98:99], s[18:19], v[94:95]
	v_fma_f64 v[94:95], v[98:99], s[16:17], v[94:95]
	;; [unrolled: 1-line block ×3, first 2 shown]
	s_delay_alu instid0(VALU_DEP_3) | instskip(SKIP_1) | instid1(VALU_DEP_4)
	v_fma_f64 v[24:25], v[104:105], s[14:15], v[24:25]
	v_fma_f64 v[96:97], v[106:107], s[18:19], v[96:97]
	;; [unrolled: 1-line block ×3, first 2 shown]
	s_delay_alu instid0(VALU_DEP_4) | instskip(NEXT) | instid1(VALU_DEP_4)
	v_fma_f64 v[26:27], v[120:121], s[12:13], v[26:27]
	v_fma_f64 v[24:25], v[20:21], s[20:21], v[24:25]
	s_delay_alu instid0(VALU_DEP_4) | instskip(NEXT) | instid1(VALU_DEP_4)
	v_fma_f64 v[96:97], v[120:121], s[14:15], v[96:97]
	v_fma_f64 v[20:21], v[20:21], s[20:21], v[94:95]
	v_add_f64_e32 v[94:95], v[32:33], v[45:46]
	v_fma_f64 v[26:27], v[22:23], s[20:21], v[26:27]
	s_delay_alu instid0(VALU_DEP_4) | instskip(SKIP_1) | instid1(VALU_DEP_4)
	v_fma_f64 v[22:23], v[22:23], s[20:21], v[96:97]
	v_add_f64_e32 v[96:97], v[34:35], v[92:93]
	v_fma_f64 v[94:95], v[94:95], -0.5, v[28:29]
	v_add_f64_e32 v[28:29], v[28:29], v[32:33]
	v_add_f64_e64 v[32:33], v[36:37], -v[32:33]
	s_delay_alu instid0(VALU_DEP_4) | instskip(SKIP_1) | instid1(VALU_DEP_4)
	v_fma_f64 v[96:97], v[96:97], -0.5, v[30:31]
	v_add_f64_e32 v[30:31], v[30:31], v[34:35]
	v_add_f64_e32 v[28:29], v[28:29], v[36:37]
	v_fma_f64 v[122:123], v[104:105], s[16:17], v[94:95]
	v_add_f64_e64 v[36:37], v[41:42], -v[45:46]
	v_add_f64_e64 v[34:35], v[38:39], -v[34:35]
	v_fma_f64 v[94:95], v[104:105], s[18:19], v[94:95]
	v_add_f64_e64 v[104:105], v[48:49], -v[144:145]
	v_add_f64_e32 v[30:31], v[30:31], v[38:39]
	v_add_f64_e32 v[28:29], v[28:29], v[41:42]
	v_add_f64_e64 v[38:39], v[43:44], -v[92:93]
	v_fma_f64 v[41:42], v[120:121], s[18:19], v[96:97]
	v_add_f64_e32 v[32:33], v[32:33], v[36:37]
	v_fma_f64 v[36:37], v[98:99], s[14:15], v[122:123]
	v_add_f64_e64 v[122:123], v[50:51], -v[148:149]
	v_add_f64_e32 v[30:31], v[30:31], v[43:44]
	v_fma_f64 v[43:44], v[120:121], s[16:17], v[96:97]
	v_add_f64_e32 v[34:35], v[34:35], v[38:39]
	v_fma_f64 v[38:39], v[106:107], s[12:13], v[41:42]
	;; [unrolled: 2-line block ×3, first 2 shown]
	ds_load_b128 v[96:99], v40 offset:4000
	v_add_f64_e32 v[30:31], v[30:31], v[92:93]
	v_fma_f64 v[41:42], v[106:107], s[14:15], v[43:44]
	v_fma_f64 v[92:93], v[32:33], s[20:21], v[36:37]
	;; [unrolled: 1-line block ×3, first 2 shown]
	v_add_f64_e64 v[36:37], v[50:51], -v[52:53]
	v_add_f64_e64 v[38:39], v[148:149], -v[58:59]
	v_fma_f64 v[32:33], v[32:33], s[20:21], v[45:46]
	v_add_f64_e32 v[45:46], v[54:55], v[56:57]
	v_add_f64_e64 v[106:107], v[54:55], -v[56:57]
	v_fma_f64 v[34:35], v[34:35], s[20:21], v[41:42]
	v_add_f64_e64 v[41:42], v[144:145], -v[56:57]
	v_add_f64_e32 v[36:37], v[36:37], v[38:39]
	v_add_f64_e64 v[38:39], v[48:49], -v[54:55]
	s_wait_dscnt 0x0
	v_fma_f64 v[120:121], v[45:46], -0.5, v[98:99]
	s_delay_alu instid0(VALU_DEP_2) | instskip(SKIP_1) | instid1(VALU_DEP_3)
	v_add_f64_e32 v[38:39], v[38:39], v[41:42]
	v_add_f64_e32 v[41:42], v[52:53], v[58:59]
	v_fma_f64 v[45:46], v[122:123], s[16:17], v[120:121]
	v_fma_f64 v[120:121], v[122:123], s[18:19], v[120:121]
	s_delay_alu instid0(VALU_DEP_3) | instskip(NEXT) | instid1(VALU_DEP_3)
	v_fma_f64 v[41:42], v[41:42], -0.5, v[96:97]
	v_fma_f64 v[46:47], v[124:125], s[12:13], v[45:46]
	s_delay_alu instid0(VALU_DEP_3) | instskip(NEXT) | instid1(VALU_DEP_3)
	v_fma_f64 v[120:121], v[124:125], s[14:15], v[120:121]
	v_fma_f64 v[43:44], v[104:105], s[18:19], v[41:42]
	;; [unrolled: 1-line block ×3, first 2 shown]
	s_delay_alu instid0(VALU_DEP_4) | instskip(NEXT) | instid1(VALU_DEP_4)
	v_fma_f64 v[46:47], v[38:39], s[20:21], v[46:47]
	v_fma_f64 v[38:39], v[38:39], s[20:21], v[120:121]
	v_add_f64_e32 v[120:121], v[48:49], v[144:145]
	v_fma_f64 v[43:44], v[106:107], s[14:15], v[43:44]
	v_fma_f64 v[41:42], v[106:107], s[12:13], v[41:42]
	s_delay_alu instid0(VALU_DEP_3) | instskip(SKIP_1) | instid1(VALU_DEP_4)
	v_fma_f64 v[120:121], v[120:121], -0.5, v[98:99]
	v_add_f64_e32 v[98:99], v[98:99], v[48:49]
	v_fma_f64 v[44:45], v[36:37], s[20:21], v[43:44]
	s_delay_alu instid0(VALU_DEP_4) | instskip(SKIP_1) | instid1(VALU_DEP_1)
	v_fma_f64 v[36:37], v[36:37], s[20:21], v[41:42]
	v_add_f64_e32 v[41:42], v[50:51], v[148:149]
	v_fma_f64 v[41:42], v[41:42], -0.5, v[96:97]
	v_add_f64_e32 v[96:97], v[96:97], v[50:51]
	s_delay_alu instid0(VALU_DEP_2) | instskip(SKIP_2) | instid1(VALU_DEP_4)
	v_fma_f64 v[126:127], v[106:107], s[16:17], v[41:42]
	v_fma_f64 v[41:42], v[106:107], s[18:19], v[41:42]
	v_add_f64_e64 v[106:107], v[52:53], -v[50:51]
	v_add_f64_e32 v[50:51], v[96:97], v[52:53]
	v_add_f64_e32 v[52:53], v[98:99], v[54:55]
	v_add_f64_e64 v[54:55], v[54:55], -v[48:49]
	v_fma_f64 v[96:97], v[124:125], s[16:17], v[120:121]
	v_fma_f64 v[41:42], v[104:105], s[12:13], v[41:42]
	v_add_f64_e32 v[48:49], v[50:51], v[58:59]
	v_add_f64_e32 v[50:51], v[52:53], v[56:57]
	v_add_f64_e64 v[52:53], v[58:59], -v[148:149]
	v_add_f64_e64 v[56:57], v[56:57], -v[144:145]
	v_fma_f64 v[58:59], v[124:125], s[18:19], v[120:121]
	v_add_f64_e32 v[48:49], v[48:49], v[148:149]
	v_add_f64_e32 v[50:51], v[50:51], v[144:145]
	;; [unrolled: 1-line block ×3, first 2 shown]
	v_fma_f64 v[52:53], v[104:105], s[14:15], v[126:127]
	v_add_f64_e32 v[104:105], v[54:55], v[56:57]
	v_fma_f64 v[54:55], v[122:123], s[12:13], v[58:59]
	v_fma_f64 v[58:59], v[122:123], s[14:15], v[96:97]
	v_add_f64_e64 v[96:97], v[118:119], -v[114:115]
	v_add_f64_e64 v[126:127], v[100:101], -v[116:117]
	v_fma_f64 v[56:57], v[98:99], s[20:21], v[41:42]
	v_add_f64_e64 v[41:42], v[102:103], -v[112:113]
	v_fma_f64 v[52:53], v[98:99], s[20:21], v[52:53]
	;; [unrolled: 2-line block ×3, first 2 shown]
	v_fma_f64 v[58:59], v[104:105], s[20:21], v[58:59]
	v_add_f64_e32 v[104:105], v[112:113], v[114:115]
	v_add_f64_e32 v[41:42], v[41:42], v[96:97]
	v_add_f64_e64 v[96:97], v[100:101], -v[108:109]
	s_delay_alu instid0(VALU_DEP_1) | instskip(SKIP_4) | instid1(VALU_DEP_1)
	v_add_f64_e32 v[122:123], v[96:97], v[98:99]
	ds_load_b128 v[96:99], v40 offset:6000
	s_wait_dscnt 0x0
	v_fma_f64 v[120:121], v[104:105], -0.5, v[96:97]
	v_add_f64_e32 v[104:105], v[108:109], v[110:111]
	v_fma_f64 v[124:125], v[104:105], -0.5, v[98:99]
	s_delay_alu instid0(VALU_DEP_3) | instskip(SKIP_1) | instid1(VALU_DEP_3)
	v_fma_f64 v[104:105], v[126:127], s[18:19], v[120:121]
	v_fma_f64 v[120:121], v[126:127], s[16:17], v[120:121]
	;; [unrolled: 1-line block ×4, first 2 shown]
	s_delay_alu instid0(VALU_DEP_4) | instskip(NEXT) | instid1(VALU_DEP_4)
	v_fma_f64 v[104:105], v[128:129], s[14:15], v[104:105]
	v_fma_f64 v[120:121], v[128:129], s[12:13], v[120:121]
	s_delay_alu instid0(VALU_DEP_4) | instskip(NEXT) | instid1(VALU_DEP_4)
	v_fma_f64 v[106:107], v[132:133], s[12:13], v[106:107]
	v_fma_f64 v[124:125], v[132:133], s[14:15], v[124:125]
	;; [unrolled: 3-line block ×3, first 2 shown]
	v_add_f64_e32 v[41:42], v[102:103], v[118:119]
	v_fma_f64 v[106:107], v[122:123], s[20:21], v[106:107]
	v_fma_f64 v[122:123], v[122:123], s[20:21], v[124:125]
	v_add_f64_e32 v[124:125], v[100:101], v[116:117]
	s_delay_alu instid0(VALU_DEP_4) | instskip(SKIP_2) | instid1(VALU_DEP_4)
	v_fma_f64 v[41:42], v[41:42], -0.5, v[96:97]
	v_add_f64_e32 v[96:97], v[96:97], v[102:103]
	v_add_f64_e64 v[102:103], v[112:113], -v[102:103]
	v_fma_f64 v[124:125], v[124:125], -0.5, v[98:99]
	v_add_f64_e32 v[98:99], v[98:99], v[100:101]
	v_fma_f64 v[134:135], v[128:129], s[16:17], v[41:42]
	v_fma_f64 v[41:42], v[128:129], s[18:19], v[41:42]
	v_add_f64_e32 v[96:97], v[96:97], v[112:113]
	v_add_f64_e64 v[112:113], v[114:115], -v[118:119]
	v_add_f64_e64 v[100:101], v[108:109], -v[100:101]
	v_add_f64_e32 v[98:99], v[98:99], v[108:109]
	v_add_f64_e64 v[108:109], v[110:111], -v[116:117]
	v_fma_f64 v[41:42], v[126:127], s[12:13], v[41:42]
	v_add_f64_e32 v[96:97], v[96:97], v[114:115]
	v_add_f64_e32 v[112:113], v[102:103], v[112:113]
	v_fma_f64 v[102:103], v[126:127], s[14:15], v[134:135]
	v_fma_f64 v[114:115], v[132:133], s[16:17], v[124:125]
	v_add_f64_e64 v[134:135], v[78:79], -v[90:91]
	v_add_f64_e32 v[98:99], v[98:99], v[110:111]
	v_fma_f64 v[110:111], v[132:133], s[18:19], v[124:125]
	v_add_f64_e64 v[132:133], v[80:81], -v[84:85]
	v_add_f64_e32 v[96:97], v[96:97], v[118:119]
	s_delay_alu instid0(VALU_DEP_4)
	v_add_f64_e32 v[98:99], v[98:99], v[116:117]
	v_add_f64_e32 v[116:117], v[100:101], v[108:109]
	v_fma_f64 v[108:109], v[130:131], s[12:13], v[110:111]
	v_fma_f64 v[100:101], v[112:113], s[20:21], v[102:103]
	;; [unrolled: 1-line block ×3, first 2 shown]
	v_add_f64_e64 v[114:115], v[88:89], -v[84:85]
	v_add_f64_e64 v[130:131], v[76:77], -v[88:89]
	v_fma_f64 v[102:103], v[116:117], s[20:21], v[108:109]
	v_fma_f64 v[108:109], v[112:113], s[20:21], v[41:42]
	v_add_f64_e64 v[41:42], v[78:79], -v[82:83]
	v_add_f64_e64 v[112:113], v[90:91], -v[86:87]
	v_fma_f64 v[110:111], v[116:117], s[20:21], v[110:111]
	v_add_f64_e32 v[116:117], v[82:83], v[86:87]
	s_delay_alu instid0(VALU_DEP_3) | instskip(SKIP_1) | instid1(VALU_DEP_1)
	v_add_f64_e32 v[41:42], v[41:42], v[112:113]
	v_add_f64_e64 v[112:113], v[76:77], -v[80:81]
	v_add_f64_e32 v[126:127], v[112:113], v[114:115]
	ds_load_b128 v[112:115], v40 offset:8000
	s_wait_dscnt 0x0
	v_fma_f64 v[124:125], v[116:117], -0.5, v[112:113]
	v_add_f64_e32 v[116:117], v[80:81], v[84:85]
	s_delay_alu instid0(VALU_DEP_1) | instskip(NEXT) | instid1(VALU_DEP_3)
	v_fma_f64 v[128:129], v[116:117], -0.5, v[114:115]
	v_fma_f64 v[116:117], v[130:131], s[18:19], v[124:125]
	v_fma_f64 v[124:125], v[130:131], s[16:17], v[124:125]
	s_delay_alu instid0(VALU_DEP_3) | instskip(NEXT) | instid1(VALU_DEP_3)
	v_fma_f64 v[118:119], v[134:135], s[16:17], v[128:129]
	v_fma_f64 v[116:117], v[132:133], s[14:15], v[116:117]
	;; [unrolled: 1-line block ×3, first 2 shown]
	s_delay_alu instid0(VALU_DEP_4) | instskip(NEXT) | instid1(VALU_DEP_4)
	v_fma_f64 v[124:125], v[132:133], s[12:13], v[124:125]
	v_fma_f64 v[118:119], v[136:137], s[12:13], v[118:119]
	s_delay_alu instid0(VALU_DEP_4) | instskip(NEXT) | instid1(VALU_DEP_4)
	v_fma_f64 v[116:117], v[41:42], s[20:21], v[116:117]
	v_fma_f64 v[128:129], v[136:137], s[14:15], v[128:129]
	s_delay_alu instid0(VALU_DEP_4) | instskip(SKIP_2) | instid1(VALU_DEP_4)
	v_fma_f64 v[124:125], v[41:42], s[20:21], v[124:125]
	v_add_f64_e32 v[41:42], v[78:79], v[90:91]
	v_fma_f64 v[118:119], v[126:127], s[20:21], v[118:119]
	v_fma_f64 v[126:127], v[126:127], s[20:21], v[128:129]
	v_add_f64_e32 v[128:129], v[76:77], v[88:89]
	s_delay_alu instid0(VALU_DEP_4) | instskip(SKIP_2) | instid1(VALU_DEP_4)
	v_fma_f64 v[41:42], v[41:42], -0.5, v[112:113]
	v_add_f64_e32 v[112:113], v[112:113], v[78:79]
	v_add_f64_e64 v[78:79], v[82:83], -v[78:79]
	v_fma_f64 v[128:129], v[128:129], -0.5, v[114:115]
	v_add_f64_e32 v[114:115], v[114:115], v[76:77]
	s_delay_alu instid0(VALU_DEP_4)
	v_add_f64_e32 v[82:83], v[112:113], v[82:83]
	v_fma_f64 v[138:139], v[132:133], s[16:17], v[41:42]
	v_fma_f64 v[41:42], v[132:133], s[18:19], v[41:42]
	v_add_f64_e64 v[76:77], v[80:81], -v[76:77]
	v_add_f64_e32 v[112:113], v[114:115], v[80:81]
	v_add_f64_e32 v[82:83], v[82:83], v[86:87]
	v_add_f64_e64 v[86:87], v[86:87], -v[90:91]
	v_add_f64_e64 v[80:81], v[84:85], -v[88:89]
	v_fma_f64 v[41:42], v[130:131], s[12:13], v[41:42]
	v_add_f64_e32 v[114:115], v[112:113], v[84:85]
	v_add_f64_e32 v[112:113], v[82:83], v[90:91]
	v_fma_f64 v[82:83], v[136:137], s[18:19], v[128:129]
	v_fma_f64 v[84:85], v[136:137], s[16:17], v[128:129]
	v_add_f64_e32 v[86:87], v[78:79], v[86:87]
	v_fma_f64 v[78:79], v[130:131], s[14:15], v[138:139]
	v_add_f64_e64 v[138:139], v[70:71], -v[72:73]
	v_add_f64_e64 v[136:137], v[64:65], -v[62:63]
	v_add_f64_e32 v[114:115], v[114:115], v[88:89]
	v_add_f64_e32 v[88:89], v[76:77], v[80:81]
	v_fma_f64 v[80:81], v[134:135], s[12:13], v[82:83]
	v_fma_f64 v[82:83], v[134:135], s[14:15], v[84:85]
	v_add_f64_e64 v[84:85], v[72:73], -v[74:75]
	v_fma_f64 v[76:77], v[86:87], s[20:21], v[78:79]
	v_add_f64_e64 v[134:135], v[66:67], -v[60:61]
	v_fma_f64 v[78:79], v[88:89], s[20:21], v[80:81]
	v_fma_f64 v[80:81], v[86:87], s[20:21], v[41:42]
	v_add_f64_e64 v[41:42], v[70:71], -v[68:69]
	v_add_f64_e64 v[86:87], v[60:61], -v[62:63]
	v_fma_f64 v[82:83], v[88:89], s[20:21], v[82:83]
	v_add_f64_e32 v[88:89], v[68:69], v[74:75]
	s_delay_alu instid0(VALU_DEP_4) | instskip(SKIP_1) | instid1(VALU_DEP_1)
	v_add_f64_e32 v[41:42], v[41:42], v[84:85]
	v_add_f64_e64 v[84:85], v[66:67], -v[64:65]
	v_add_f64_e32 v[130:131], v[84:85], v[86:87]
	ds_load_b128 v[84:87], v40 offset:10000
	s_wait_dscnt 0x0
	v_fma_f64 v[128:129], v[88:89], -0.5, v[84:85]
	v_add_f64_e32 v[88:89], v[64:65], v[62:63]
	s_delay_alu instid0(VALU_DEP_1) | instskip(NEXT) | instid1(VALU_DEP_3)
	v_fma_f64 v[132:133], v[88:89], -0.5, v[86:87]
	v_fma_f64 v[88:89], v[134:135], s[16:17], v[128:129]
	v_fma_f64 v[128:129], v[134:135], s[18:19], v[128:129]
	s_delay_alu instid0(VALU_DEP_3) | instskip(SKIP_1) | instid1(VALU_DEP_4)
	v_fma_f64 v[90:91], v[138:139], s[18:19], v[132:133]
	v_fma_f64 v[132:133], v[138:139], s[16:17], v[132:133]
	;; [unrolled: 1-line block ×3, first 2 shown]
	s_delay_alu instid0(VALU_DEP_4) | instskip(NEXT) | instid1(VALU_DEP_4)
	v_fma_f64 v[128:129], v[136:137], s[12:13], v[128:129]
	v_fma_f64 v[90:91], v[140:141], s[12:13], v[90:91]
	s_delay_alu instid0(VALU_DEP_4) | instskip(NEXT) | instid1(VALU_DEP_4)
	v_fma_f64 v[132:133], v[140:141], s[14:15], v[132:133]
	v_fma_f64 v[88:89], v[41:42], s[20:21], v[88:89]
	s_delay_alu instid0(VALU_DEP_4) | instskip(SKIP_4) | instid1(VALU_DEP_4)
	v_fma_f64 v[128:129], v[41:42], s[20:21], v[128:129]
	v_add_f64_e32 v[41:42], v[70:71], v[72:73]
	v_fma_f64 v[90:91], v[130:131], s[20:21], v[90:91]
	v_fma_f64 v[130:131], v[130:131], s[20:21], v[132:133]
	v_add_f64_e32 v[132:133], v[66:67], v[60:61]
	v_fma_f64 v[41:42], v[41:42], -0.5, v[84:85]
	v_add_f64_e32 v[84:85], v[84:85], v[68:69]
	s_delay_alu instid0(VALU_DEP_3) | instskip(SKIP_2) | instid1(VALU_DEP_4)
	v_fma_f64 v[132:133], v[132:133], -0.5, v[86:87]
	v_add_f64_e32 v[86:87], v[86:87], v[64:65]
	v_add_f64_e64 v[64:65], v[64:65], -v[66:67]
	v_add_f64_e32 v[68:69], v[84:85], v[70:71]
	s_delay_alu instid0(VALU_DEP_3) | instskip(SKIP_1) | instid1(VALU_DEP_3)
	v_add_f64_e32 v[70:71], v[86:87], v[66:67]
	v_fma_f64 v[66:67], v[136:137], s[18:19], v[41:42]
	v_add_f64_e32 v[68:69], v[68:69], v[72:73]
	v_add_f64_e64 v[72:73], v[74:75], -v[72:73]
	v_fma_f64 v[41:42], v[136:137], s[16:17], v[41:42]
	v_add_f64_e32 v[70:71], v[70:71], v[60:61]
	v_add_f64_e64 v[60:61], v[62:63], -v[60:61]
	v_add_f64_e32 v[68:69], v[68:69], v[74:75]
	v_fma_f64 v[74:75], v[140:141], s[18:19], v[132:133]
	v_add_f64_e32 v[72:73], v[142:143], v[72:73]
	v_fma_f64 v[66:67], v[134:135], s[14:15], v[66:67]
	v_fma_f64 v[41:42], v[134:135], s[12:13], v[41:42]
	v_add_f64_e32 v[70:71], v[70:71], v[62:63]
	v_fma_f64 v[62:63], v[140:141], s[16:17], v[132:133]
	v_add_f64_e32 v[84:85], v[64:65], v[60:61]
	v_fma_f64 v[74:75], v[138:139], s[14:15], v[74:75]
	v_fma_f64 v[60:61], v[72:73], s[20:21], v[66:67]
	;; [unrolled: 1-line block ×4, first 2 shown]
	s_delay_alu instid0(VALU_DEP_4) | instskip(NEXT) | instid1(VALU_DEP_2)
	v_fma_f64 v[66:67], v[84:85], s[20:21], v[74:75]
	v_fma_f64 v[62:63], v[84:85], s[20:21], v[62:63]
	ds_store_b128 v40, v[12:15]
	ds_store_b128 v40, v[4:7] offset:12000
	ds_store_b128 v40, v[16:19] offset:24000
	ds_store_b128 v40, v[8:11] offset:36000
	ds_store_b128 v40, v[0:3] offset:48000
	ds_store_b128 v40, v[28:31] offset:2000
	ds_store_b128 v40, v[24:27] offset:14000
	ds_store_b128 v40, v[92:95] offset:26000
	ds_store_b128 v40, v[32:35] offset:38000
	ds_store_b128 v40, v[20:23] offset:50000
	ds_store_b128 v40, v[48:51] offset:4000
	ds_store_b128 v40, v[44:47] offset:16000
	ds_store_b128 v40, v[52:55] offset:28000
	ds_store_b128 v40, v[56:59] offset:40000
	ds_store_b128 v40, v[36:39] offset:52000
	ds_store_b128 v40, v[96:99] offset:6000
	ds_store_b128 v40, v[104:107] offset:18000
	ds_store_b128 v40, v[100:103] offset:30000
	ds_store_b128 v40, v[108:111] offset:42000
	ds_store_b128 v40, v[120:123] offset:54000
	ds_store_b128 v40, v[112:115] offset:8000
	ds_store_b128 v40, v[116:119] offset:20000
	ds_store_b128 v40, v[76:79] offset:32000
	ds_store_b128 v40, v[80:83] offset:44000
	ds_store_b128 v40, v[124:127] offset:56000
	ds_store_b128 v40, v[68:71] offset:10000
	ds_store_b128 v40, v[60:63] offset:22000
	ds_store_b128 v40, v[88:91] offset:34000
	ds_store_b128 v40, v[128:131] offset:46000
	ds_store_b128 v40, v[64:67] offset:58000
	global_wb scope:SCOPE_SE
	s_wait_dscnt 0x0
	s_barrier_signal -1
	s_barrier_wait -1
	global_inv scope:SCOPE_SE
	s_clause 0x5
	scratch_load_b128 v[6:9], off, off offset:440 th:TH_LOAD_LU
	scratch_load_b128 v[67:70], off, off offset:424 th:TH_LOAD_LU
	;; [unrolled: 1-line block ×6, first 2 shown]
	ds_load_b128 v[0:3], v40
	s_clause 0xb
	scratch_load_b128 v[22:25], off, off offset:376 th:TH_LOAD_LU
	scratch_load_b128 v[34:37], off, off offset:344 th:TH_LOAD_LU
	;; [unrolled: 1-line block ×12, first 2 shown]
	s_wait_loadcnt_dscnt 0x1100
	v_mul_f64_e32 v[4:5], v[8:9], v[2:3]
	s_delay_alu instid0(VALU_DEP_1) | instskip(SKIP_1) | instid1(VALU_DEP_1)
	v_fma_f64 v[4:5], v[6:7], v[0:1], v[4:5]
	v_mul_f64_e32 v[0:1], v[8:9], v[0:1]
	v_fma_f64 v[6:7], v[6:7], v[2:3], -v[0:1]
	ds_load_b128 v[0:3], v40 offset:20000
	s_wait_loadcnt_dscnt 0xf00
	v_mul_f64_e32 v[8:9], v[12:13], v[2:3]
	s_delay_alu instid0(VALU_DEP_1) | instskip(SKIP_1) | instid1(VALU_DEP_1)
	v_fma_f64 v[8:9], v[10:11], v[0:1], v[8:9]
	v_mul_f64_e32 v[0:1], v[12:13], v[0:1]
	v_fma_f64 v[10:11], v[10:11], v[2:3], -v[0:1]
	ds_load_b128 v[0:3], v40 offset:40000
	;; [unrolled: 7-line block ×5, first 2 shown]
	s_wait_dscnt 0x0
	v_mul_f64_e32 v[24:25], v[28:29], v[2:3]
	s_delay_alu instid0(VALU_DEP_1) | instskip(SKIP_1) | instid1(VALU_DEP_1)
	v_fma_f64 v[24:25], v[26:27], v[0:1], v[24:25]
	v_mul_f64_e32 v[0:1], v[28:29], v[0:1]
	v_fma_f64 v[26:27], v[26:27], v[2:3], -v[0:1]
	ds_load_b128 v[0:3], v40 offset:4000
	s_wait_loadcnt_dscnt 0x900
	v_mul_f64_e32 v[28:29], v[32:33], v[2:3]
	s_delay_alu instid0(VALU_DEP_1) | instskip(SKIP_1) | instid1(VALU_DEP_1)
	v_fma_f64 v[28:29], v[30:31], v[0:1], v[28:29]
	v_mul_f64_e32 v[0:1], v[32:33], v[0:1]
	v_fma_f64 v[30:31], v[30:31], v[2:3], -v[0:1]
	ds_load_b128 v[0:3], v40 offset:24000
	s_wait_dscnt 0x0
	v_mul_f64_e32 v[32:33], v[36:37], v[2:3]
	s_delay_alu instid0(VALU_DEP_1) | instskip(SKIP_1) | instid1(VALU_DEP_1)
	v_fma_f64 v[32:33], v[34:35], v[0:1], v[32:33]
	v_mul_f64_e32 v[0:1], v[36:37], v[0:1]
	v_fma_f64 v[34:35], v[34:35], v[2:3], -v[0:1]
	ds_load_b128 v[0:3], v40 offset:44000
	s_wait_loadcnt_dscnt 0x700
	v_mul_f64_e32 v[36:37], v[43:44], v[2:3]
	s_delay_alu instid0(VALU_DEP_1)
	v_fma_f64 v[36:37], v[41:42], v[0:1], v[36:37]
	v_mul_f64_e32 v[0:1], v[43:44], v[0:1]
	scratch_load_b128 v[43:46], off, off offset:360 th:TH_LOAD_LU ; 16-byte Folded Reload
	v_fma_f64 v[38:39], v[41:42], v[2:3], -v[0:1]
	ds_load_b128 v[0:3], v40 offset:6000
	s_wait_loadcnt_dscnt 0x0
	v_mul_f64_e32 v[41:42], v[45:46], v[2:3]
	s_delay_alu instid0(VALU_DEP_1) | instskip(SKIP_1) | instid1(VALU_DEP_1)
	v_fma_f64 v[41:42], v[43:44], v[0:1], v[41:42]
	v_mul_f64_e32 v[0:1], v[45:46], v[0:1]
	v_fma_f64 v[43:44], v[43:44], v[2:3], -v[0:1]
	ds_load_b128 v[0:3], v40 offset:26000
	s_wait_dscnt 0x0
	v_mul_f64_e32 v[45:46], v[49:50], v[2:3]
	s_delay_alu instid0(VALU_DEP_1) | instskip(SKIP_1) | instid1(VALU_DEP_1)
	v_fma_f64 v[45:46], v[47:48], v[0:1], v[45:46]
	v_mul_f64_e32 v[0:1], v[49:50], v[0:1]
	v_fma_f64 v[47:48], v[47:48], v[2:3], -v[0:1]
	ds_load_b128 v[0:3], v40 offset:46000
	s_wait_dscnt 0x0
	;; [unrolled: 7-line block ×9, first 2 shown]
	v_mul_f64_e32 v[77:78], v[81:82], v[2:3]
	s_delay_alu instid0(VALU_DEP_1)
	v_fma_f64 v[77:78], v[79:80], v[0:1], v[77:78]
	v_mul_f64_e32 v[0:1], v[81:82], v[0:1]
	scratch_load_b32 v81, off, off offset:488 th:TH_LOAD_LU ; 4-byte Folded Reload
	v_fma_f64 v[79:80], v[79:80], v[2:3], -v[0:1]
	scratch_load_b64 v[2:3], off, off th:TH_LOAD_LU ; 8-byte Folded Reload
	s_wait_loadcnt 0x0
	v_mad_co_u64_u32 v[0:1], null, s6, v2, 0
	s_delay_alu instid0(VALU_DEP_1) | instskip(SKIP_3) | instid1(VALU_DEP_2)
	v_mad_co_u64_u32 v[1:2], null, s7, v2, v[1:2]
	v_mad_co_u64_u32 v[2:3], null, s4, v81, 0
	s_mov_b32 s6, 0x9cbd821e
	s_mov_b32 s7, 0x3f3179ec
	v_lshlrev_b64_e32 v[0:1], 4, v[0:1]
	s_delay_alu instid0(VALU_DEP_2) | instskip(NEXT) | instid1(VALU_DEP_1)
	v_mad_co_u64_u32 v[81:82], null, s5, v81, v[3:4]
	v_mov_b32_e32 v3, v81
	s_delay_alu instid0(VALU_DEP_3) | instskip(SKIP_1) | instid1(VALU_DEP_4)
	v_add_co_u32 v81, vcc_lo, s0, v0
	s_wait_alu 0xfffd
	v_add_co_ci_u32_e32 v82, vcc_lo, s1, v1, vcc_lo
	s_delay_alu instid0(VALU_DEP_3)
	v_lshlrev_b64_e32 v[0:1], 4, v[2:3]
	s_wait_alu 0xfffe
	v_mul_f64_e32 v[2:3], s[6:7], v[6:7]
	s_mul_u64 s[0:1], s[4:5], 0x4e20
	v_mul_f64_e32 v[6:7], s[6:7], v[26:27]
	v_mul_f64_e32 v[26:27], s[6:7], v[51:52]
	v_add_co_u32 v81, vcc_lo, v81, v0
	s_wait_alu 0xfffd
	v_add_co_ci_u32_e32 v82, vcc_lo, v82, v1, vcc_lo
	v_mul_f64_e32 v[0:1], s[6:7], v[4:5]
	s_wait_alu 0xfffe
	v_add_co_u32 v4, vcc_lo, v81, s0
	s_wait_alu 0xfffd
	v_add_co_ci_u32_e32 v5, vcc_lo, s1, v82, vcc_lo
	global_store_b128 v[81:82], v[0:3], off
	v_mul_f64_e32 v[0:1], s[6:7], v[8:9]
	v_mul_f64_e32 v[2:3], s[6:7], v[10:11]
	;; [unrolled: 1-line block ×5, first 2 shown]
	global_store_b128 v[4:5], v[0:3], off
	v_mul_f64_e32 v[0:1], s[6:7], v[12:13]
	v_mul_f64_e32 v[2:3], s[6:7], v[14:15]
	v_add_co_u32 v4, vcc_lo, v4, s0
	s_wait_alu 0xfffd
	v_add_co_ci_u32_e32 v5, vcc_lo, s1, v5, vcc_lo
	v_mul_f64_e32 v[14:15], s[6:7], v[34:35]
	s_delay_alu instid0(VALU_DEP_3) | instskip(SKIP_1) | instid1(VALU_DEP_3)
	v_add_co_u32 v12, vcc_lo, v4, s2
	s_wait_alu 0xfffd
	v_add_co_ci_u32_e32 v13, vcc_lo, s3, v5, vcc_lo
	v_mul_f64_e32 v[34:35], s[6:7], v[59:60]
	global_store_b128 v[4:5], v[0:3], off
	v_mul_f64_e32 v[0:1], s[6:7], v[16:17]
	v_mul_f64_e32 v[2:3], s[6:7], v[18:19]
	;; [unrolled: 1-line block ×6, first 2 shown]
	global_store_b128 v[12:13], v[0:3], off
	v_mul_f64_e32 v[0:1], s[6:7], v[20:21]
	v_mul_f64_e32 v[2:3], s[6:7], v[22:23]
	v_add_co_u32 v20, vcc_lo, v12, s0
	s_wait_alu 0xfffd
	v_add_co_ci_u32_e32 v21, vcc_lo, s1, v13, vcc_lo
	v_mul_f64_e32 v[12:13], s[6:7], v[32:33]
	v_mul_f64_e32 v[32:33], s[6:7], v[57:58]
	global_store_b128 v[20:21], v[0:3], off
	v_add_co_u32 v20, vcc_lo, v20, s0
	s_wait_alu 0xfffd
	v_add_co_ci_u32_e32 v21, vcc_lo, s1, v21, vcc_lo
	ds_load_b128 v[0:3], v40 offset:32000
	v_add_co_u32 v22, vcc_lo, v20, s2
	global_store_b128 v[20:21], v[4:7], off
	scratch_load_b128 v[4:7], off, off offset:168 th:TH_LOAD_LU ; 16-byte Folded Reload
	s_wait_alu 0xfffd
	v_add_co_ci_u32_e32 v23, vcc_lo, s3, v21, vcc_lo
	v_add_co_u32 v28, vcc_lo, v22, s0
	v_mul_f64_e32 v[20:21], s[6:7], v[45:46]
	s_wait_alu 0xfffd
	s_delay_alu instid0(VALU_DEP_3)
	v_add_co_ci_u32_e32 v29, vcc_lo, s1, v23, vcc_lo
	global_store_b128 v[22:23], v[8:11], off
	v_mul_f64_e32 v[22:23], s[6:7], v[47:48]
	scratch_load_b128 v[47:50], off, off offset:152 th:TH_LOAD_LU ; 16-byte Folded Reload
	global_store_b128 v[28:29], v[12:15], off
	ds_load_b128 v[8:11], v40 offset:52000
	ds_load_b128 v[12:15], v40 offset:14000
	s_wait_loadcnt 0x1
	v_dual_mov_b32 v82, v5 :: v_dual_mov_b32 v81, v4
	v_mul_f64_e32 v[4:5], s[6:7], v[41:42]
	v_add_co_u32 v41, vcc_lo, v28, s0
	s_wait_alu 0xfffd
	v_add_co_ci_u32_e32 v42, vcc_lo, s1, v29, vcc_lo
	v_mul_f64_e32 v[28:29], s[6:7], v[53:54]
	scratch_load_b128 v[52:55], off, off offset:120 th:TH_LOAD_LU ; 16-byte Folded Reload
	s_wait_dscnt 0x2
	v_mul_f64_e32 v[36:37], v[6:7], v[2:3]
	v_mul_f64_e32 v[38:39], v[6:7], v[0:1]
	;; [unrolled: 1-line block ×3, first 2 shown]
	global_store_b128 v[41:42], v[16:19], off
	v_add_co_u32 v41, vcc_lo, v41, s2
	s_wait_alu 0xfffd
	v_add_co_ci_u32_e32 v42, vcc_lo, s3, v42, vcc_lo
	s_wait_loadcnt 0x1
	v_mov_b32_e32 v86, v48
	s_wait_dscnt 0x1
	v_mul_f64_e32 v[43:44], v[49:50], v[10:11]
	v_mul_f64_e32 v[45:46], v[49:50], v[8:9]
	v_mov_b32_e32 v85, v47
	v_mul_f64_e32 v[16:17], s[6:7], v[61:62]
	v_mul_f64_e32 v[18:19], s[6:7], v[63:64]
	v_fma_f64 v[48:49], v[81:82], v[0:1], v[36:37]
	v_fma_f64 v[50:51], v[81:82], v[2:3], -v[38:39]
	global_store_b128 v[41:42], v[4:7], off
	ds_load_b128 v[0:3], v40 offset:34000
	ds_load_b128 v[4:7], v40 offset:54000
	v_fma_f64 v[62:63], v[85:86], v[8:9], v[43:44]
	s_wait_loadcnt 0x0
	v_dual_mov_b32 v82, v53 :: v_dual_mov_b32 v81, v52
	v_add_co_u32 v52, vcc_lo, v41, s0
	s_wait_alu 0xfffd
	v_add_co_ci_u32_e32 v53, vcc_lo, s1, v42, vcc_lo
	s_wait_dscnt 0x2
	v_mul_f64_e32 v[36:37], v[54:55], v[14:15]
	v_add_co_u32 v41, vcc_lo, v52, s0
	s_wait_alu 0xfffd
	v_add_co_ci_u32_e32 v42, vcc_lo, s1, v53, vcc_lo
	global_store_b128 v[52:53], v[20:23], off
	v_mul_f64_e32 v[38:39], v[54:55], v[12:13]
	v_add_co_u32 v52, vcc_lo, v41, s2
	global_store_b128 v[41:42], v[24:27], off
	scratch_load_b128 v[24:27], off, off offset:88 th:TH_LOAD_LU ; 16-byte Folded Reload
	s_wait_alu 0xfffd
	v_add_co_ci_u32_e32 v53, vcc_lo, s3, v42, vcc_lo
	v_add_co_u32 v41, vcc_lo, v52, s0
	ds_load_b128 v[20:23], v40 offset:58000
	s_wait_alu 0xfffd
	v_add_co_ci_u32_e32 v42, vcc_lo, s1, v53, vcc_lo
	v_add_co_u32 v60, vcc_lo, v41, s0
	global_store_b128 v[52:53], v[28:31], off
	s_wait_alu 0xfffd
	v_add_co_ci_u32_e32 v61, vcc_lo, s1, v42, vcc_lo
	ds_load_b128 v[28:31], v40 offset:36000
	s_wait_loadcnt 0x0
	v_mov_b32_e32 v84, v25
	s_wait_dscnt 0x3
	v_mul_f64_e32 v[54:55], v[26:27], v[2:3]
	v_mul_f64_e32 v[56:57], v[26:27], v[0:1]
	v_mov_b32_e32 v83, v24
	scratch_load_b128 v[24:27], off, off offset:104 th:TH_LOAD_LU ; 16-byte Folded Reload
	v_fma_f64 v[54:55], v[83:84], v[0:1], v[54:55]
	v_fma_f64 v[56:57], v[83:84], v[2:3], -v[56:57]
	s_wait_loadcnt 0x0
	v_mov_b32_e32 v90, v25
	s_wait_dscnt 0x2
	v_mul_f64_e32 v[52:53], v[26:27], v[6:7]
	v_mul_f64_e32 v[58:59], v[26:27], v[4:5]
	v_mov_b32_e32 v89, v24
	v_mul_f64_e32 v[24:25], s[6:7], v[65:66]
	v_mul_f64_e32 v[26:27], s[6:7], v[67:68]
	v_fma_f64 v[64:65], v[85:86], v[10:11], -v[45:46]
	ds_load_b128 v[8:11], v40 offset:16000
	v_fma_f64 v[66:67], v[81:82], v[12:13], v[36:37]
	v_fma_f64 v[81:82], v[81:82], v[14:15], -v[38:39]
	ds_load_b128 v[12:15], v40 offset:18000
	ds_load_b128 v[36:39], v40 offset:56000
	global_store_b128 v[41:42], v[32:35], off
	ds_load_b128 v[32:35], v40 offset:38000
	global_store_b128 v[60:61], v[16:19], off
	v_mul_f64_e32 v[18:19], s[6:7], v[71:72]
	v_mul_f64_e32 v[40:41], s[6:7], v[73:74]
	v_mul_f64_e32 v[42:43], s[6:7], v[75:76]
	scratch_load_b128 v[72:75], off, off offset:8 th:TH_LOAD_LU ; 16-byte Folded Reload
	v_mul_f64_e32 v[16:17], s[6:7], v[69:70]
	v_mul_f64_e32 v[44:45], s[6:7], v[77:78]
	;; [unrolled: 1-line block ×3, first 2 shown]
	scratch_load_b128 v[93:96], off, off offset:56 th:TH_LOAD_LU ; 16-byte Folded Reload
	v_add_co_u32 v60, vcc_lo, v60, s2
	s_wait_alu 0xfffd
	v_add_co_ci_u32_e32 v61, vcc_lo, s3, v61, vcc_lo
	v_fma_f64 v[52:53], v[89:90], v[4:5], v[52:53]
	v_fma_f64 v[58:59], v[89:90], v[6:7], -v[58:59]
	global_store_b128 v[60:61], v[24:27], off
	v_add_co_u32 v26, vcc_lo, v60, s0
	s_wait_alu 0xfffd
	v_add_co_ci_u32_e32 v27, vcc_lo, s1, v61, vcc_lo
	s_delay_alu instid0(VALU_DEP_2) | instskip(SKIP_1) | instid1(VALU_DEP_2)
	v_add_co_u32 v60, vcc_lo, v26, s0
	s_wait_alu 0xfffd
	v_add_co_ci_u32_e32 v61, vcc_lo, s1, v27, vcc_lo
	global_store_b128 v[26:27], v[16:19], off
	v_add_co_u32 v16, vcc_lo, v60, s2
	s_wait_alu 0xfffd
	v_add_co_ci_u32_e32 v17, vcc_lo, s3, v61, vcc_lo
	v_mul_f64_e32 v[18:19], s[6:7], v[58:59]
	s_wait_loadcnt_dscnt 0x103
	v_mul_f64_e32 v[68:69], v[74:75], v[10:11]
	v_mul_f64_e32 v[70:71], v[74:75], v[8:9]
	scratch_load_b128 v[74:77], off, off offset:24 th:TH_LOAD_LU ; 16-byte Folded Reload
	v_dual_mov_b32 v86, v73 :: v_dual_mov_b32 v85, v72
	s_wait_loadcnt_dscnt 0x102
	v_mul_f64_e32 v[4:5], v[95:96], v[12:13]
	s_delay_alu instid0(VALU_DEP_2)
	v_fma_f64 v[26:27], v[85:86], v[8:9], v[68:69]
	v_mul_f64_e32 v[8:9], s[6:7], v[66:67]
	s_wait_loadcnt 0x0
	v_mul_f64_e32 v[72:73], v[76:77], v[30:31]
	v_mul_f64_e32 v[0:1], v[76:77], v[28:29]
	scratch_load_b128 v[76:79], off, off offset:40 th:TH_LOAD_LU ; 16-byte Folded Reload
	v_dual_mov_b32 v88, v75 :: v_dual_mov_b32 v87, v74
	s_delay_alu instid0(VALU_DEP_1)
	v_fma_f64 v[28:29], v[87:88], v[28:29], v[72:73]
	v_fma_f64 v[30:31], v[87:88], v[30:31], -v[0:1]
	v_mul_f64_e32 v[0:1], s[6:7], v[48:49]
	v_add_co_u32 v48, vcc_lo, v16, s0
	s_wait_alu 0xfffd
	v_add_co_ci_u32_e32 v49, vcc_lo, s1, v17, vcc_lo
	s_wait_loadcnt 0x0
	v_dual_mov_b32 v92, v77 :: v_dual_mov_b32 v91, v76
	v_mul_f64_e32 v[76:77], v[95:96], v[14:15]
	scratch_load_b128 v[95:98], off, off offset:72 th:TH_LOAD_LU ; 16-byte Folded Reload
	s_wait_dscnt 0x1
	v_mul_f64_e32 v[2:3], v[78:79], v[38:39]
	v_mul_f64_e32 v[74:75], v[78:79], v[36:37]
	s_delay_alu instid0(VALU_DEP_2) | instskip(NEXT) | instid1(VALU_DEP_2)
	v_fma_f64 v[36:37], v[91:92], v[36:37], v[2:3]
	v_fma_f64 v[38:39], v[91:92], v[38:39], -v[74:75]
	v_mul_f64_e32 v[2:3], s[6:7], v[50:51]
	v_add_co_u32 v50, vcc_lo, v48, s0
	s_wait_alu 0xfffd
	v_add_co_ci_u32_e32 v51, vcc_lo, s1, v49, vcc_lo
	s_wait_loadcnt_dscnt 0x0
	v_mul_f64_e32 v[6:7], v[97:98], v[34:35]
	v_mul_f64_e32 v[78:79], v[97:98], v[32:33]
	scratch_load_b128 v[97:100], off, off offset:136 th:TH_LOAD_LU ; 16-byte Folded Reload
	global_store_b128 v[60:61], v[40:43], off
	global_store_b128 v[16:17], v[44:47], off
	v_fma_f64 v[40:41], v[85:86], v[10:11], -v[70:71]
	v_fma_f64 v[42:43], v[93:94], v[12:13], v[76:77]
	v_fma_f64 v[44:45], v[93:94], v[14:15], -v[4:5]
	v_mul_f64_e32 v[4:5], s[6:7], v[62:63]
	v_mul_f64_e32 v[10:11], s[6:7], v[81:82]
	v_add_co_u32 v62, vcc_lo, v50, s2
	s_wait_alu 0xfffd
	v_add_co_ci_u32_e32 v63, vcc_lo, s3, v51, vcc_lo
	v_mul_f64_e32 v[12:13], s[6:7], v[54:55]
	v_mul_f64_e32 v[14:15], s[6:7], v[56:57]
	;; [unrolled: 1-line block ×3, first 2 shown]
	v_add_co_u32 v52, vcc_lo, v62, s0
	s_wait_alu 0xfffd
	v_add_co_ci_u32_e32 v53, vcc_lo, s1, v63, vcc_lo
	global_store_b128 v[48:49], v[0:3], off
	v_fma_f64 v[46:47], v[95:96], v[32:33], v[6:7]
	v_fma_f64 v[60:61], v[95:96], v[34:35], -v[78:79]
	v_mul_f64_e32 v[6:7], s[6:7], v[64:65]
	v_mul_f64_e32 v[32:33], s[6:7], v[42:43]
	;; [unrolled: 1-line block ×3, first 2 shown]
	v_add_co_u32 v44, vcc_lo, v52, s0
	s_wait_alu 0xfffd
	v_add_co_ci_u32_e32 v45, vcc_lo, s1, v53, vcc_lo
	s_delay_alu instid0(VALU_DEP_2) | instskip(SKIP_1) | instid1(VALU_DEP_2)
	v_add_co_u32 v0, vcc_lo, v44, s2
	s_wait_alu 0xfffd
	v_add_co_ci_u32_e32 v1, vcc_lo, s3, v45, vcc_lo
	s_delay_alu instid0(VALU_DEP_2) | instskip(SKIP_1) | instid1(VALU_DEP_2)
	v_add_co_u32 v2, vcc_lo, v0, s0
	s_wait_alu 0xfffd
	v_add_co_ci_u32_e32 v3, vcc_lo, s1, v1, vcc_lo
	global_store_b128 v[50:51], v[4:7], off
	v_add_co_u32 v4, vcc_lo, v2, s0
	s_wait_alu 0xfffd
	v_add_co_ci_u32_e32 v5, vcc_lo, s1, v3, vcc_lo
	global_store_b128 v[62:63], v[8:11], off
	;; [unrolled: 4-line block ×4, first 2 shown]
	s_wait_loadcnt 0x0
	v_mul_f64_e32 v[83:84], v[99:100], v[22:23]
	v_mul_f64_e32 v[24:25], v[99:100], v[20:21]
	s_delay_alu instid0(VALU_DEP_2) | instskip(NEXT) | instid1(VALU_DEP_2)
	v_fma_f64 v[68:69], v[97:98], v[20:21], v[83:84]
	v_fma_f64 v[70:71], v[97:98], v[22:23], -v[24:25]
	v_mul_f64_e32 v[20:21], s[6:7], v[26:27]
	v_mul_f64_e32 v[22:23], s[6:7], v[40:41]
	;; [unrolled: 1-line block ×10, first 2 shown]
	global_store_b128 v[0:1], v[20:23], off
	v_add_co_u32 v0, vcc_lo, v8, s0
	s_wait_alu 0xfffd
	v_add_co_ci_u32_e32 v1, vcc_lo, s1, v9, vcc_lo
	global_store_b128 v[2:3], v[24:27], off
	global_store_b128 v[4:5], v[28:31], off
	;; [unrolled: 1-line block ×5, first 2 shown]
.LBB0_2:
	s_nop 0
	s_sendmsg sendmsg(MSG_DEALLOC_VGPRS)
	s_endpgm
	.section	.rodata,"a",@progbits
	.p2align	6, 0x0
	.amdhsa_kernel bluestein_single_fwd_len3750_dim1_dp_op_CI_CI
		.amdhsa_group_segment_fixed_size 60000
		.amdhsa_private_segment_fixed_size 1832
		.amdhsa_kernarg_size 104
		.amdhsa_user_sgpr_count 2
		.amdhsa_user_sgpr_dispatch_ptr 0
		.amdhsa_user_sgpr_queue_ptr 0
		.amdhsa_user_sgpr_kernarg_segment_ptr 1
		.amdhsa_user_sgpr_dispatch_id 0
		.amdhsa_user_sgpr_private_segment_size 0
		.amdhsa_wavefront_size32 1
		.amdhsa_uses_dynamic_stack 0
		.amdhsa_enable_private_segment 1
		.amdhsa_system_sgpr_workgroup_id_x 1
		.amdhsa_system_sgpr_workgroup_id_y 0
		.amdhsa_system_sgpr_workgroup_id_z 0
		.amdhsa_system_sgpr_workgroup_info 0
		.amdhsa_system_vgpr_workitem_id 0
		.amdhsa_next_free_vgpr 256
		.amdhsa_next_free_sgpr 32
		.amdhsa_reserve_vcc 1
		.amdhsa_float_round_mode_32 0
		.amdhsa_float_round_mode_16_64 0
		.amdhsa_float_denorm_mode_32 3
		.amdhsa_float_denorm_mode_16_64 3
		.amdhsa_fp16_overflow 0
		.amdhsa_workgroup_processor_mode 1
		.amdhsa_memory_ordered 1
		.amdhsa_forward_progress 0
		.amdhsa_round_robin_scheduling 0
		.amdhsa_exception_fp_ieee_invalid_op 0
		.amdhsa_exception_fp_denorm_src 0
		.amdhsa_exception_fp_ieee_div_zero 0
		.amdhsa_exception_fp_ieee_overflow 0
		.amdhsa_exception_fp_ieee_underflow 0
		.amdhsa_exception_fp_ieee_inexact 0
		.amdhsa_exception_int_div_zero 0
	.end_amdhsa_kernel
	.text
.Lfunc_end0:
	.size	bluestein_single_fwd_len3750_dim1_dp_op_CI_CI, .Lfunc_end0-bluestein_single_fwd_len3750_dim1_dp_op_CI_CI
                                        ; -- End function
	.section	.AMDGPU.csdata,"",@progbits
; Kernel info:
; codeLenInByte = 49208
; NumSgprs: 34
; NumVgprs: 256
; ScratchSize: 1832
; MemoryBound: 0
; FloatMode: 240
; IeeeMode: 1
; LDSByteSize: 60000 bytes/workgroup (compile time only)
; SGPRBlocks: 4
; VGPRBlocks: 31
; NumSGPRsForWavesPerEU: 34
; NumVGPRsForWavesPerEU: 256
; Occupancy: 2
; WaveLimiterHint : 1
; COMPUTE_PGM_RSRC2:SCRATCH_EN: 1
; COMPUTE_PGM_RSRC2:USER_SGPR: 2
; COMPUTE_PGM_RSRC2:TRAP_HANDLER: 0
; COMPUTE_PGM_RSRC2:TGID_X_EN: 1
; COMPUTE_PGM_RSRC2:TGID_Y_EN: 0
; COMPUTE_PGM_RSRC2:TGID_Z_EN: 0
; COMPUTE_PGM_RSRC2:TIDIG_COMP_CNT: 0
	.text
	.p2alignl 7, 3214868480
	.fill 96, 4, 3214868480
	.type	__hip_cuid_8e93022039069357,@object ; @__hip_cuid_8e93022039069357
	.section	.bss,"aw",@nobits
	.globl	__hip_cuid_8e93022039069357
__hip_cuid_8e93022039069357:
	.byte	0                               ; 0x0
	.size	__hip_cuid_8e93022039069357, 1

	.ident	"AMD clang version 19.0.0git (https://github.com/RadeonOpenCompute/llvm-project roc-6.4.0 25133 c7fe45cf4b819c5991fe208aaa96edf142730f1d)"
	.section	".note.GNU-stack","",@progbits
	.addrsig
	.addrsig_sym __hip_cuid_8e93022039069357
	.amdgpu_metadata
---
amdhsa.kernels:
  - .args:
      - .actual_access:  read_only
        .address_space:  global
        .offset:         0
        .size:           8
        .value_kind:     global_buffer
      - .actual_access:  read_only
        .address_space:  global
        .offset:         8
        .size:           8
        .value_kind:     global_buffer
      - .actual_access:  read_only
        .address_space:  global
        .offset:         16
        .size:           8
        .value_kind:     global_buffer
      - .actual_access:  read_only
        .address_space:  global
        .offset:         24
        .size:           8
        .value_kind:     global_buffer
      - .actual_access:  read_only
        .address_space:  global
        .offset:         32
        .size:           8
        .value_kind:     global_buffer
      - .offset:         40
        .size:           8
        .value_kind:     by_value
      - .address_space:  global
        .offset:         48
        .size:           8
        .value_kind:     global_buffer
      - .address_space:  global
        .offset:         56
        .size:           8
        .value_kind:     global_buffer
      - .address_space:  global
        .offset:         64
        .size:           8
        .value_kind:     global_buffer
      - .address_space:  global
        .offset:         72
        .size:           8
        .value_kind:     global_buffer
      - .offset:         80
        .size:           4
        .value_kind:     by_value
      - .address_space:  global
        .offset:         88
        .size:           8
        .value_kind:     global_buffer
      - .address_space:  global
        .offset:         96
        .size:           8
        .value_kind:     global_buffer
    .group_segment_fixed_size: 60000
    .kernarg_segment_align: 8
    .kernarg_segment_size: 104
    .language:       OpenCL C
    .language_version:
      - 2
      - 0
    .max_flat_workgroup_size: 125
    .name:           bluestein_single_fwd_len3750_dim1_dp_op_CI_CI
    .private_segment_fixed_size: 1832
    .sgpr_count:     34
    .sgpr_spill_count: 0
    .symbol:         bluestein_single_fwd_len3750_dim1_dp_op_CI_CI.kd
    .uniform_work_group_size: 1
    .uses_dynamic_stack: false
    .vgpr_count:     256
    .vgpr_spill_count: 457
    .wavefront_size: 32
    .workgroup_processor_mode: 1
amdhsa.target:   amdgcn-amd-amdhsa--gfx1201
amdhsa.version:
  - 1
  - 2
...

	.end_amdgpu_metadata
